;; amdgpu-corpus repo=ROCm/rocFFT kind=compiled arch=gfx950 opt=O3
	.text
	.amdgcn_target "amdgcn-amd-amdhsa--gfx950"
	.amdhsa_code_object_version 6
	.protected	bluestein_single_back_len330_dim1_dp_op_CI_CI ; -- Begin function bluestein_single_back_len330_dim1_dp_op_CI_CI
	.globl	bluestein_single_back_len330_dim1_dp_op_CI_CI
	.p2align	8
	.type	bluestein_single_back_len330_dim1_dp_op_CI_CI,@function
bluestein_single_back_len330_dim1_dp_op_CI_CI: ; @bluestein_single_back_len330_dim1_dp_op_CI_CI
; %bb.0:
	s_load_dwordx4 s[4:7], s[0:1], 0x28
	v_mul_u32_u24_e32 v1, 0x7c2, v0
	v_lshrrev_b32_e32 v2, 16, v1
	v_mad_u64_u32 v[134:135], s[2:3], s2, 3, v[2:3]
	v_mov_b32_e32 v133, 0
	v_mov_b32_e32 v135, v133
	s_waitcnt lgkmcnt(0)
	v_cmp_gt_u64_e32 vcc, s[4:5], v[134:135]
	s_and_saveexec_b64 s[2:3], vcc
	s_cbranch_execz .LBB0_23
; %bb.1:
	v_mul_lo_u16_e32 v1, 33, v2
	s_mov_b32 s2, 0xaaaaaaab
	v_sub_u16_e32 v132, v0, v1
	v_mul_hi_u32 v0, v134, s2
	s_load_dwordx2 s[12:13], s[0:1], 0x0
	s_load_dwordx2 s[14:15], s[0:1], 0x38
	v_lshrrev_b32_e32 v0, 1, v0
	v_lshl_add_u32 v0, v0, 1, v0
	v_sub_u32_e32 v0, v134, v0
	v_mul_u32_u24_e32 v135, 0x14a, v0
	v_cmp_gt_u16_e64 s[4:5], 30, v132
	v_lshlrev_b32_e32 v136, 4, v132
	v_lshlrev_b32_e32 v218, 4, v135
	s_and_saveexec_b64 s[2:3], s[4:5]
	s_cbranch_execz .LBB0_3
; %bb.2:
	s_load_dwordx2 s[8:9], s[0:1], 0x18
	v_mov_b32_e32 v0, s6
	v_mov_b32_e32 v1, s7
	;; [unrolled: 1-line block ×4, first 2 shown]
	s_waitcnt lgkmcnt(0)
	s_load_dwordx4 s[8:11], s[8:9], 0x0
	v_lshl_add_u64 v[70:71], s[12:13], 0, v[136:137]
	v_lshl_add_u32 v94, v132, 4, v218
	v_add_u32_e32 v95, v218, v136
	s_waitcnt lgkmcnt(0)
	v_mad_u64_u32 v[2:3], s[6:7], s10, v134, 0
	v_mad_u64_u32 v[4:5], s[6:7], s8, v132, 0
	v_mov_b32_e32 v6, v3
	v_mov_b32_e32 v8, v5
	v_mad_u64_u32 v[6:7], s[6:7], s11, v134, v[6:7]
	v_mov_b32_e32 v3, v6
	v_mad_u64_u32 v[6:7], s[6:7], s9, v132, v[8:9]
	v_mov_b32_e32 v5, v6
	v_lshl_add_u64 v[0:1], v[2:3], 4, v[0:1]
	v_lshl_add_u64 v[20:21], v[4:5], 4, v[0:1]
	global_load_dwordx4 v[0:3], v[20:21], off
	s_mulk_i32 s9, 0x1e0
	v_mad_u64_u32 v[20:21], s[6:7], s8, v88, v[20:21]
	v_add_u32_e32 v21, s9, v21
	global_load_dwordx4 v[4:7], v136, s[12:13]
	global_load_dwordx4 v[8:11], v136, s[12:13] offset:480
	global_load_dwordx4 v[12:15], v136, s[12:13] offset:960
	;; [unrolled: 1-line block ×7, first 2 shown]
	global_load_dwordx4 v[38:41], v[20:21], off
	global_load_dwordx4 v[42:45], v136, s[12:13] offset:3840
	v_mad_u64_u32 v[20:21], s[6:7], s8, v88, v[20:21]
	v_add_u32_e32 v21, s9, v21
	global_load_dwordx4 v[46:49], v[20:21], off
	v_mad_u64_u32 v[20:21], s[6:7], s8, v88, v[20:21]
	v_add_u32_e32 v21, s9, v21
	global_load_dwordx4 v[50:53], v[20:21], off
	v_mad_u64_u32 v[20:21], s[6:7], s8, v88, v[20:21]
	v_add_u32_e32 v21, s9, v21
	global_load_dwordx4 v[54:57], v[20:21], off
	v_mad_u64_u32 v[20:21], s[6:7], s8, v88, v[20:21]
	v_add_u32_e32 v21, s9, v21
	global_load_dwordx4 v[58:61], v[20:21], off
	v_mad_u64_u32 v[20:21], s[6:7], s8, v88, v[20:21]
	v_add_u32_e32 v21, s9, v21
	global_load_dwordx4 v[62:65], v[20:21], off
	v_mad_u64_u32 v[20:21], s[6:7], s8, v88, v[20:21]
	v_add_u32_e32 v21, s9, v21
	s_movk_i32 s10, 0x1000
	global_load_dwordx4 v[66:69], v[20:21], off
	v_mad_u64_u32 v[20:21], s[6:7], s8, v88, v[20:21]
	v_add_co_u32_e32 v86, vcc, s10, v70
	v_add_u32_e32 v21, s9, v21
	s_nop 0
	v_addc_co_u32_e32 v87, vcc, 0, v71, vcc
	global_load_dwordx4 v[70:73], v[20:21], off
	v_mad_u64_u32 v[20:21], s[6:7], s8, v88, v[20:21]
	v_add_u32_e32 v21, s9, v21
	global_load_dwordx4 v[74:77], v[20:21], off
	global_load_dwordx4 v[78:81], v[86:87], off offset:224
	global_load_dwordx4 v[82:85], v[86:87], off offset:704
	v_mad_u64_u32 v[20:21], s[6:7], s8, v88, v[20:21]
	v_add_u32_e32 v21, s9, v21
	global_load_dwordx4 v[86:89], v[20:21], off
	s_waitcnt vmcnt(20)
	v_mul_f64 v[20:21], v[0:1], v[6:7]
	v_mul_f64 v[90:91], v[2:3], v[6:7]
	v_fma_f64 v[92:93], v[2:3], v[4:5], -v[20:21]
	v_fmac_f64_e32 v[90:91], v[0:1], v[4:5]
	ds_write_b128 v94, v[90:93]
	s_waitcnt vmcnt(12)
	v_mul_f64 v[2:3], v[38:39], v[10:11]
	v_mul_f64 v[0:1], v[40:41], v[10:11]
	v_fma_f64 v[2:3], v[40:41], v[8:9], -v[2:3]
	v_fmac_f64_e32 v[0:1], v[38:39], v[8:9]
	ds_write_b128 v95, v[0:3] offset:480
	s_waitcnt vmcnt(10)
	v_mul_f64 v[0:1], v[48:49], v[14:15]
	v_mul_f64 v[2:3], v[46:47], v[14:15]
	v_fmac_f64_e32 v[0:1], v[46:47], v[12:13]
	v_fma_f64 v[2:3], v[48:49], v[12:13], -v[2:3]
	ds_write_b128 v95, v[0:3] offset:960
	s_waitcnt vmcnt(9)
	v_mul_f64 v[0:1], v[52:53], v[18:19]
	v_mul_f64 v[2:3], v[50:51], v[18:19]
	v_fmac_f64_e32 v[0:1], v[50:51], v[16:17]
	v_fma_f64 v[2:3], v[52:53], v[16:17], -v[2:3]
	;; [unrolled: 6-line block ×9, first 2 shown]
	ds_write_b128 v95, v[0:3] offset:4800
.LBB0_3:
	s_or_b64 exec, exec, s[2:3]
	s_load_dwordx2 s[2:3], s[0:1], 0x20
	s_load_dwordx2 s[6:7], s[0:1], 0x8
	s_waitcnt lgkmcnt(0)
	s_barrier
	s_waitcnt lgkmcnt(0)
                                        ; implicit-def: $vgpr0_vgpr1
                                        ; implicit-def: $vgpr4_vgpr5
                                        ; implicit-def: $vgpr8_vgpr9
                                        ; implicit-def: $vgpr12_vgpr13
                                        ; implicit-def: $vgpr16_vgpr17
                                        ; implicit-def: $vgpr20_vgpr21
                                        ; implicit-def: $vgpr24_vgpr25
                                        ; implicit-def: $vgpr28_vgpr29
                                        ; implicit-def: $vgpr32_vgpr33
                                        ; implicit-def: $vgpr36_vgpr37
                                        ; implicit-def: $vgpr40_vgpr41
	s_and_saveexec_b64 s[0:1], s[4:5]
	s_cbranch_execz .LBB0_5
; %bb.4:
	v_lshlrev_b32_e32 v0, 4, v132
	v_lshl_add_u32 v40, v135, 4, v0
	ds_read_b128 v[0:3], v40
	ds_read_b128 v[4:7], v40 offset:480
	ds_read_b128 v[8:11], v40 offset:960
	;; [unrolled: 1-line block ×10, first 2 shown]
.LBB0_5:
	s_or_b64 exec, exec, s[0:1]
	s_mov_b32 s18, 0xf8bb580b
	s_waitcnt lgkmcnt(0)
	v_add_f64 v[94:95], v[6:7], -v[42:43]
	s_mov_b32 s8, 0x8764f0ba
	s_mov_b32 s19, 0xbfe14ced
	;; [unrolled: 1-line block ×3, first 2 shown]
	v_add_f64 v[64:65], v[4:5], v[40:41]
	v_add_f64 v[76:77], v[4:5], -v[40:41]
	s_mov_b32 s9, 0x3feaeb8c
	v_mul_f64 v[60:61], v[94:95], s[18:19]
	v_add_f64 v[104:105], v[10:11], -v[38:39]
	s_mov_b32 s10, 0xd9c712b6
	s_mov_b32 s21, 0xbfed1bb4
	v_add_f64 v[66:67], v[6:7], v[42:43]
	v_mul_f64 v[62:63], v[76:77], s[18:19]
	v_fma_f64 v[44:45], s[8:9], v[64:65], v[60:61]
	v_add_f64 v[70:71], v[8:9], v[36:37]
	v_add_f64 v[90:91], v[8:9], -v[36:37]
	s_mov_b32 s11, 0x3fda9628
	v_mul_f64 v[68:69], v[104:105], s[20:21]
	s_mov_b32 s28, 0x43842ef
	v_add_f64 v[44:45], v[0:1], v[44:45]
	v_fma_f64 v[46:47], v[66:67], s[8:9], -v[62:63]
	v_add_f64 v[72:73], v[10:11], v[38:39]
	v_mul_f64 v[74:75], v[90:91], s[20:21]
	v_fma_f64 v[48:49], s[10:11], v[70:71], v[68:69]
	v_add_f64 v[110:111], v[14:15], -v[34:35]
	s_mov_b32 s16, 0x640f44db
	s_mov_b32 s29, 0xbfefac9e
	v_add_f64 v[46:47], v[2:3], v[46:47]
	v_add_f64 v[44:45], v[48:49], v[44:45]
	v_fma_f64 v[48:49], v[72:73], s[10:11], -v[74:75]
	v_add_f64 v[80:81], v[12:13], v[32:33]
	v_add_f64 v[100:101], v[12:13], -v[32:33]
	s_mov_b32 s17, 0xbfc2375f
	v_mul_f64 v[78:79], v[110:111], s[28:29]
	s_mov_b32 s26, 0xbb3a28a1
	v_add_f64 v[46:47], v[48:49], v[46:47]
	v_add_f64 v[82:83], v[14:15], v[34:35]
	v_mul_f64 v[88:89], v[100:101], s[28:29]
	v_fma_f64 v[48:49], s[16:17], v[80:81], v[78:79]
	v_add_f64 v[116:117], v[18:19], -v[30:31]
	s_mov_b32 s22, 0x7f775887
	s_mov_b32 s27, 0xbfe82f19
	v_add_f64 v[44:45], v[48:49], v[44:45]
	v_fma_f64 v[48:49], v[82:83], s[16:17], -v[88:89]
	v_add_f64 v[96:97], v[16:17], v[28:29]
	s_mov_b32 s23, 0xbfe4f49e
	v_mul_f64 v[92:93], v[116:117], s[26:27]
	v_add_f64 v[118:119], v[16:17], -v[28:29]
	s_mov_b32 s30, 0xfd768dbf
	v_add_f64 v[46:47], v[48:49], v[46:47]
	v_fma_f64 v[48:49], s[22:23], v[96:97], v[92:93]
	v_add_f64 v[102:103], v[18:19], v[30:31]
	v_mul_f64 v[98:99], v[118:119], s[26:27]
	s_mov_b32 s24, 0x9bcd5057
	s_mov_b32 s31, 0xbfd207e7
	v_add_f64 v[120:121], v[22:23], -v[26:27]
	v_add_f64 v[44:45], v[48:49], v[44:45]
	v_fma_f64 v[48:49], v[102:103], s[22:23], -v[98:99]
	s_mov_b32 s25, 0xbfeeb42a
	v_add_f64 v[108:109], v[20:21], v[24:25]
	v_mul_f64 v[106:107], v[120:121], s[30:31]
	v_add_f64 v[122:123], v[20:21], -v[24:25]
	v_add_f64 v[46:47], v[48:49], v[46:47]
	v_fma_f64 v[48:49], s[24:25], v[108:109], v[106:107]
	v_add_f64 v[114:115], v[22:23], v[26:27]
	v_mul_f64 v[112:113], v[122:123], s[30:31]
	v_add_f64 v[84:85], v[48:49], v[44:45]
	v_fma_f64 v[44:45], v[114:115], s[24:25], -v[112:113]
	v_add_f64 v[86:87], v[44:45], v[46:47]
	s_barrier
	s_and_saveexec_b64 s[0:1], s[4:5]
	s_cbranch_execz .LBB0_7
; %bb.6:
	v_mul_f64 v[54:55], v[66:67], s[24:25]
	s_mov_b32 s35, 0x3fd207e7
	s_mov_b32 s34, s30
	v_mul_f64 v[52:53], v[72:73], s[8:9]
	v_fma_f64 v[46:47], s[34:35], v[76:77], v[54:55]
	v_mul_f64 v[50:51], v[82:83], s[22:23]
	s_mov_b32 s39, 0x3fe82f19
	s_mov_b32 s38, s26
	v_fma_f64 v[44:45], s[18:19], v[90:91], v[52:53]
	v_add_f64 v[46:47], v[2:3], v[46:47]
	v_mul_f64 v[48:49], v[102:103], s[10:11]
	v_add_f64 v[44:45], v[44:45], v[46:47]
	v_fma_f64 v[46:47], s[38:39], v[100:101], v[50:51]
	v_add_f64 v[44:45], v[46:47], v[44:45]
	v_fma_f64 v[46:47], s[20:21], v[118:119], v[48:49]
	s_mov_b32 s37, 0x3fe14ced
	s_mov_b32 s36, s18
	v_mul_f64 v[56:57], v[94:95], s[30:31]
	v_add_f64 v[44:45], v[46:47], v[44:45]
	v_fma_f64 v[46:47], s[24:25], v[64:65], v[56:57]
	v_mul_f64 v[58:59], v[104:105], s[36:37]
	v_fmac_f64_e32 v[54:55], s[30:31], v[76:77]
	v_add_f64 v[46:47], v[0:1], v[46:47]
	v_fma_f64 v[124:125], s[8:9], v[70:71], v[58:59]
	v_fmac_f64_e32 v[52:53], s[36:37], v[90:91]
	v_add_f64 v[54:55], v[2:3], v[54:55]
	v_add_f64 v[46:47], v[124:125], v[46:47]
	v_mul_f64 v[124:125], v[110:111], s[26:27]
	s_mov_b32 s43, 0x3fed1bb4
	s_mov_b32 s42, s20
	v_add_f64 v[52:53], v[52:53], v[54:55]
	v_fmac_f64_e32 v[50:51], s[26:27], v[100:101]
	v_fma_f64 v[126:127], s[22:23], v[80:81], v[124:125]
	v_add_f64 v[50:51], v[50:51], v[52:53]
	v_fmac_f64_e32 v[48:49], s[42:43], v[118:119]
	v_fma_f64 v[52:53], v[64:65], s[24:25], -v[56:57]
	v_add_f64 v[46:47], v[126:127], v[46:47]
	v_mul_f64 v[126:127], v[116:117], s[42:43]
	v_add_f64 v[48:49], v[48:49], v[50:51]
	v_fma_f64 v[50:51], v[70:71], s[8:9], -v[58:59]
	v_add_f64 v[52:53], v[0:1], v[52:53]
	v_fma_f64 v[128:129], s[10:11], v[96:97], v[126:127]
	s_mov_b32 s41, 0x3fefac9e
	s_mov_b32 s40, s28
	v_mul_f64 v[130:131], v[114:115], s[16:17]
	v_add_f64 v[50:51], v[50:51], v[52:53]
	v_fma_f64 v[52:53], v[80:81], s[22:23], -v[124:125]
	v_add_f64 v[128:129], v[128:129], v[46:47]
	v_fma_f64 v[46:47], s[40:41], v[122:123], v[130:131]
	v_mul_f64 v[138:139], v[120:121], s[28:29]
	v_add_f64 v[50:51], v[52:53], v[50:51]
	v_fma_f64 v[52:53], v[96:97], s[10:11], -v[126:127]
	v_fmac_f64_e32 v[130:131], s[28:29], v[122:123]
	v_add_f64 v[52:53], v[52:53], v[50:51]
	v_add_f64 v[50:51], v[130:131], v[48:49]
	v_fma_f64 v[48:49], v[108:109], s[16:17], -v[138:139]
	v_mul_f64 v[56:57], v[66:67], s[22:23]
	v_add_f64 v[48:49], v[48:49], v[52:53]
	v_fma_f64 v[52:53], s[38:39], v[76:77], v[56:57]
	v_mul_f64 v[58:59], v[72:73], s[16:17]
	v_add_f64 v[52:53], v[2:3], v[52:53]
	v_fma_f64 v[54:55], s[28:29], v[90:91], v[58:59]
	;; [unrolled: 3-line block ×3, first 2 shown]
	v_add_f64 v[52:53], v[54:55], v[52:53]
	v_fma_f64 v[54:55], s[36:37], v[100:101], v[124:125]
	v_mul_f64 v[126:127], v[102:103], s[24:25]
	v_add_f64 v[44:45], v[44:45], v[128:129]
	v_add_f64 v[52:53], v[54:55], v[52:53]
	v_fma_f64 v[54:55], s[34:35], v[118:119], v[126:127]
	v_mul_f64 v[128:129], v[94:95], s[26:27]
	v_add_f64 v[52:53], v[54:55], v[52:53]
	v_fma_f64 v[54:55], s[22:23], v[64:65], v[128:129]
	v_mul_f64 v[130:131], v[104:105], s[40:41]
	v_fmac_f64_e32 v[56:57], s[26:27], v[76:77]
	v_add_f64 v[54:55], v[0:1], v[54:55]
	v_fma_f64 v[138:139], s[16:17], v[70:71], v[130:131]
	v_fmac_f64_e32 v[58:59], s[40:41], v[90:91]
	v_add_f64 v[56:57], v[2:3], v[56:57]
	v_add_f64 v[54:55], v[138:139], v[54:55]
	v_mul_f64 v[138:139], v[110:111], s[18:19]
	v_add_f64 v[56:57], v[58:59], v[56:57]
	v_fmac_f64_e32 v[124:125], s[18:19], v[100:101]
	v_fma_f64 v[140:141], s[8:9], v[80:81], v[138:139]
	v_add_f64 v[56:57], v[124:125], v[56:57]
	v_fma_f64 v[124:125], v[64:65], s[22:23], -v[128:129]
	v_add_f64 v[54:55], v[140:141], v[54:55]
	v_mul_f64 v[140:141], v[116:117], s[30:31]
	v_fma_f64 v[58:59], v[70:71], s[16:17], -v[130:131]
	v_add_f64 v[124:125], v[0:1], v[124:125]
	v_fma_f64 v[142:143], s[24:25], v[96:97], v[140:141]
	v_mul_f64 v[144:145], v[114:115], s[10:11]
	v_fmac_f64_e32 v[126:127], s[30:31], v[118:119]
	v_add_f64 v[58:59], v[58:59], v[124:125]
	v_fma_f64 v[124:125], v[80:81], s[8:9], -v[138:139]
	v_add_f64 v[142:143], v[142:143], v[54:55]
	v_fma_f64 v[54:55], s[20:21], v[122:123], v[144:145]
	v_mul_f64 v[146:147], v[120:121], s[42:43]
	v_add_f64 v[56:57], v[126:127], v[56:57]
	v_add_f64 v[58:59], v[124:125], v[58:59]
	v_fma_f64 v[124:125], v[96:97], s[24:25], -v[140:141]
	v_fmac_f64_e32 v[144:145], s[42:43], v[122:123]
	v_add_f64 v[124:125], v[124:125], v[58:59]
	v_add_f64 v[58:59], v[144:145], v[56:57]
	v_fma_f64 v[56:57], v[108:109], s[10:11], -v[146:147]
	v_mul_f64 v[128:129], v[66:67], s[16:17]
	v_add_f64 v[56:57], v[56:57], v[124:125]
	v_fma_f64 v[124:125], s[40:41], v[76:77], v[128:129]
	v_mul_f64 v[130:131], v[72:73], s[24:25]
	v_add_f64 v[124:125], v[2:3], v[124:125]
	v_fma_f64 v[126:127], s[30:31], v[90:91], v[130:131]
	;; [unrolled: 3-line block ×3, first 2 shown]
	v_add_f64 v[124:125], v[126:127], v[124:125]
	v_fma_f64 v[126:127], s[20:21], v[100:101], v[138:139]
	v_mul_f64 v[140:141], v[102:103], s[8:9]
	v_add_f64 v[52:53], v[52:53], v[142:143]
	v_add_f64 v[124:125], v[126:127], v[124:125]
	v_fma_f64 v[126:127], s[36:37], v[118:119], v[140:141]
	v_mul_f64 v[142:143], v[94:95], s[28:29]
	v_add_f64 v[124:125], v[126:127], v[124:125]
	v_fma_f64 v[126:127], s[16:17], v[64:65], v[142:143]
	v_mul_f64 v[144:145], v[104:105], s[34:35]
	v_fmac_f64_e32 v[128:129], s[28:29], v[76:77]
	v_add_f64 v[126:127], v[0:1], v[126:127]
	v_fma_f64 v[146:147], s[24:25], v[70:71], v[144:145]
	v_fmac_f64_e32 v[130:131], s[34:35], v[90:91]
	v_add_f64 v[128:129], v[2:3], v[128:129]
	v_add_f64 v[126:127], v[146:147], v[126:127]
	v_mul_f64 v[146:147], v[110:111], s[42:43]
	v_add_f64 v[128:129], v[130:131], v[128:129]
	v_fmac_f64_e32 v[138:139], s[42:43], v[100:101]
	v_fma_f64 v[148:149], s[10:11], v[80:81], v[146:147]
	v_add_f64 v[128:129], v[138:139], v[128:129]
	v_fma_f64 v[138:139], v[64:65], s[16:17], -v[142:143]
	v_add_f64 v[126:127], v[148:149], v[126:127]
	v_mul_f64 v[148:149], v[116:117], s[18:19]
	v_fma_f64 v[130:131], v[70:71], s[24:25], -v[144:145]
	v_add_f64 v[138:139], v[0:1], v[138:139]
	v_fma_f64 v[150:151], s[8:9], v[96:97], v[148:149]
	v_mul_f64 v[152:153], v[114:115], s[22:23]
	v_fmac_f64_e32 v[140:141], s[18:19], v[118:119]
	v_add_f64 v[130:131], v[130:131], v[138:139]
	v_fma_f64 v[138:139], v[80:81], s[10:11], -v[146:147]
	v_add_f64 v[150:151], v[150:151], v[126:127]
	v_fma_f64 v[126:127], s[38:39], v[122:123], v[152:153]
	v_mul_f64 v[154:155], v[120:121], s[26:27]
	v_add_f64 v[128:129], v[140:141], v[128:129]
	v_add_f64 v[130:131], v[138:139], v[130:131]
	v_fma_f64 v[138:139], v[96:97], s[8:9], -v[148:149]
	v_fmac_f64_e32 v[152:153], s[26:27], v[122:123]
	v_add_f64 v[138:139], v[138:139], v[130:131]
	v_add_f64 v[130:131], v[152:153], v[128:129]
	v_fma_f64 v[128:129], v[108:109], s[22:23], -v[154:155]
	v_mul_f64 v[142:143], v[66:67], s[10:11]
	v_add_f64 v[128:129], v[128:129], v[138:139]
	v_fma_f64 v[138:139], s[42:43], v[76:77], v[142:143]
	v_mul_f64 v[144:145], v[72:73], s[22:23]
	v_add_f64 v[138:139], v[2:3], v[138:139]
	v_fma_f64 v[140:141], s[38:39], v[90:91], v[144:145]
	;; [unrolled: 3-line block ×5, first 2 shown]
	v_fma_f64 v[94:95], v[64:65], s[10:11], -v[94:95]
	v_mul_f64 v[64:65], v[64:65], s[8:9]
	v_mul_f64 v[66:67], v[66:67], s[8:9]
	v_fmac_f64_e32 v[142:143], s[20:21], v[76:77]
	v_add_f64 v[62:63], v[62:63], v[66:67]
	v_add_f64 v[60:61], v[64:65], -v[60:61]
	v_add_f64 v[126:127], v[126:127], v[124:125]
	v_fma_f64 v[124:125], s[22:23], v[108:109], v[154:155]
	v_mul_f64 v[104:105], v[104:105], s[26:27]
	v_add_f64 v[140:141], v[0:1], v[140:141]
	v_add_f64 v[76:77], v[2:3], v[142:143]
	;; [unrolled: 1-line block ×8, first 2 shown]
	v_fma_f64 v[150:151], s[22:23], v[70:71], v[104:105]
	v_mul_f64 v[110:111], v[110:111], s[34:35]
	v_fmac_f64_e32 v[144:145], s[26:27], v[90:91]
	v_add_f64 v[2:3], v[2:3], v[10:11]
	v_add_f64 v[0:1], v[0:1], v[8:9]
	v_add_f64 v[140:141], v[150:151], v[140:141]
	v_fma_f64 v[150:151], s[24:25], v[80:81], v[110:111]
	v_mul_f64 v[116:117], v[116:117], s[40:41]
	v_fmac_f64_e32 v[146:147], s[34:35], v[100:101]
	v_add_f64 v[76:77], v[144:145], v[76:77]
	v_fma_f64 v[90:91], v[70:71], s[22:23], -v[104:105]
	v_add_f64 v[2:3], v[2:3], v[14:15]
	v_add_f64 v[0:1], v[0:1], v[12:13]
	;; [unrolled: 1-line block ×3, first 2 shown]
	v_fma_f64 v[150:151], s[16:17], v[96:97], v[116:117]
	v_mul_f64 v[152:153], v[114:115], s[8:9]
	v_fmac_f64_e32 v[148:149], s[40:41], v[118:119]
	v_add_f64 v[76:77], v[146:147], v[76:77]
	v_add_f64 v[90:91], v[90:91], v[94:95]
	v_fma_f64 v[94:95], v[80:81], s[24:25], -v[110:111]
	v_add_f64 v[2:3], v[2:3], v[18:19]
	v_add_f64 v[0:1], v[0:1], v[16:17]
	;; [unrolled: 1-line block ×3, first 2 shown]
	v_fma_f64 v[140:141], s[18:19], v[122:123], v[152:153]
	v_mul_f64 v[120:121], v[120:121], s[36:37]
	v_fmac_f64_e32 v[152:153], s[36:37], v[122:123]
	v_add_f64 v[76:77], v[148:149], v[76:77]
	v_add_f64 v[90:91], v[94:95], v[90:91]
	v_fma_f64 v[94:95], v[96:97], s[16:17], -v[116:117]
	v_add_f64 v[2:3], v[2:3], v[22:23]
	v_add_f64 v[0:1], v[0:1], v[20:21]
	v_add_f64 v[90:91], v[94:95], v[90:91]
	v_add_f64 v[118:119], v[152:153], v[76:77]
	v_fma_f64 v[76:77], v[108:109], s[8:9], -v[120:121]
	v_mul_f64 v[70:71], v[70:71], s[10:11]
	v_mul_f64 v[72:73], v[72:73], s[10:11]
	v_add_f64 v[2:3], v[2:3], v[26:27]
	v_add_f64 v[0:1], v[0:1], v[24:25]
	;; [unrolled: 1-line block ×3, first 2 shown]
	v_mul_f64 v[76:77], v[80:81], s[16:17]
	v_mul_f64 v[80:81], v[82:83], s[16:17]
	v_add_f64 v[72:73], v[74:75], v[72:73]
	v_add_f64 v[68:69], v[70:71], -v[68:69]
	v_add_f64 v[2:3], v[2:3], v[30:31]
	v_add_f64 v[0:1], v[0:1], v[28:29]
	v_mul_f64 v[82:83], v[96:97], s[22:23]
	v_mul_f64 v[90:91], v[102:103], s[22:23]
	v_add_f64 v[80:81], v[88:89], v[80:81]
	v_add_f64 v[62:63], v[72:73], v[62:63]
	v_add_f64 v[74:75], v[76:77], -v[78:79]
	v_add_f64 v[60:61], v[68:69], v[60:61]
	v_add_f64 v[2:3], v[2:3], v[34:35]
	;; [unrolled: 1-line block ×3, first 2 shown]
	v_mul_f64 v[94:95], v[108:109], s[24:25]
	v_mul_f64 v[96:97], v[114:115], s[24:25]
	v_add_f64 v[90:91], v[98:99], v[90:91]
	v_add_f64 v[62:63], v[80:81], v[62:63]
	v_add_f64 v[72:73], v[82:83], -v[92:93]
	v_add_f64 v[60:61], v[74:75], v[60:61]
	v_add_f64 v[2:3], v[2:3], v[38:39]
	;; [unrolled: 1-line block ×3, first 2 shown]
	v_mul_lo_u16_e32 v4, 11, v132
	v_add_f64 v[140:141], v[140:141], v[138:139]
	v_fma_f64 v[138:139], s[8:9], v[108:109], v[120:121]
	v_add_f64 v[96:97], v[112:113], v[96:97]
	v_add_f64 v[62:63], v[90:91], v[62:63]
	v_add_f64 v[66:67], v[94:95], -v[106:107]
	v_add_f64 v[60:61], v[72:73], v[60:61]
	v_add_f64 v[2:3], v[2:3], v[42:43]
	;; [unrolled: 1-line block ×3, first 2 shown]
	v_add_lshl_u32 v4, v135, v4, 4
	v_add_f64 v[138:139], v[138:139], v[150:151]
	v_add_f64 v[62:63], v[96:97], v[62:63]
	;; [unrolled: 1-line block ×3, first 2 shown]
	ds_write_b128 v4, v[0:3]
	ds_write_b128 v4, v[60:63] offset:16
	ds_write_b128 v4, v[116:119] offset:32
	;; [unrolled: 1-line block ×10, first 2 shown]
.LBB0_7:
	s_or_b64 exec, exec, s[0:1]
	s_movk_i32 s0, 0x75
	v_mul_lo_u16_sdwa v0, v132, s0 dst_sel:DWORD dst_unused:UNUSED_PAD src0_sel:BYTE_0 src1_sel:DWORD
	v_sub_u16_sdwa v1, v132, v0 dst_sel:DWORD dst_unused:UNUSED_PAD src0_sel:DWORD src1_sel:BYTE_1
	v_lshrrev_b16_e32 v1, 1, v1
	v_and_b32_e32 v1, 0x7f, v1
	v_add_u16_sdwa v0, v1, v0 dst_sel:DWORD dst_unused:UNUSED_PAD src0_sel:DWORD src1_sel:BYTE_1
	v_lshrrev_b16_e32 v116, 3, v0
	v_mul_lo_u16_e32 v0, 11, v116
	v_sub_u16_e32 v0, v132, v0
	v_and_b32_e32 v117, 0xff, v0
	s_movk_i32 s0, 0x90
	v_mov_b64_e32 v[0:1], s[6:7]
	v_mad_u64_u32 v[0:1], s[0:1], v117, s0, v[0:1]
	s_load_dwordx4 s[8:11], s[2:3], 0x0
	s_waitcnt lgkmcnt(0)
	s_barrier
	global_load_dwordx4 v[16:19], v[0:1], off
	global_load_dwordx4 v[12:15], v[0:1], off offset:16
	global_load_dwordx4 v[8:11], v[0:1], off offset:32
	;; [unrolled: 1-line block ×8, first 2 shown]
	v_add_lshl_u32 v219, v135, v132, 4
	ds_read_b128 v[0:3], v219
	ds_read_b128 v[36:39], v219 offset:528
	ds_read_b128 v[40:43], v219 offset:1056
	;; [unrolled: 1-line block ×9, first 2 shown]
	s_mov_b32 s18, 0x134454ff
	s_mov_b32 s19, 0x3fee6f0e
	;; [unrolled: 1-line block ×12, first 2 shown]
	s_waitcnt lgkmcnt(0)
	s_barrier
	s_waitcnt vmcnt(8)
	v_mul_f64 v[76:77], v[38:39], v[18:19]
	s_waitcnt vmcnt(7)
	v_mul_f64 v[80:81], v[42:43], v[14:15]
	v_mul_f64 v[78:79], v[36:37], v[18:19]
	;; [unrolled: 1-line block ×3, first 2 shown]
	s_waitcnt vmcnt(6)
	v_mul_f64 v[88:89], v[50:51], v[10:11]
	s_waitcnt vmcnt(5)
	v_mul_f64 v[92:93], v[54:55], v[6:7]
	;; [unrolled: 2-line block ×4, first 2 shown]
	v_fma_f64 v[76:77], v[36:37], v[16:17], -v[76:77]
	v_fma_f64 v[36:37], v[40:41], v[12:13], -v[80:81]
	v_mul_f64 v[90:91], v[48:49], v[10:11]
	v_mul_f64 v[98:99], v[56:57], v[34:35]
	s_waitcnt vmcnt(1)
	v_mul_f64 v[108:109], v[70:71], v[22:23]
	v_mul_f64 v[110:111], v[68:69], v[22:23]
	v_fmac_f64_e32 v[78:79], v[38:39], v[16:17]
	v_fmac_f64_e32 v[82:83], v[42:43], v[12:13]
	v_fma_f64 v[38:39], v[48:49], v[8:9], -v[88:89]
	v_fma_f64 v[40:41], v[52:53], v[4:5], -v[92:93]
	;; [unrolled: 1-line block ×4, first 2 shown]
	v_add_f64 v[56:57], v[0:1], v[36:37]
	v_mul_f64 v[94:95], v[52:53], v[6:7]
	v_mul_f64 v[102:103], v[60:61], v[30:31]
	;; [unrolled: 1-line block ×4, first 2 shown]
	v_fmac_f64_e32 v[98:99], v[58:59], v[32:33]
	v_fma_f64 v[52:53], v[68:69], v[20:21], -v[108:109]
	v_fmac_f64_e32 v[110:111], v[70:71], v[20:21]
	v_add_f64 v[58:59], v[40:41], v[48:49]
	v_add_f64 v[56:57], v[56:57], v[40:41]
	v_fmac_f64_e32 v[90:91], v[50:51], v[8:9]
	v_fmac_f64_e32 v[94:95], v[54:55], v[4:5]
	;; [unrolled: 1-line block ×3, first 2 shown]
	v_fma_f64 v[50:51], v[64:65], v[24:25], -v[104:105]
	v_fmac_f64_e32 v[106:107], v[66:67], v[24:25]
	v_add_f64 v[60:61], v[82:83], -v[110:111]
	v_add_f64 v[64:65], v[36:37], -v[40:41]
	;; [unrolled: 1-line block ×3, first 2 shown]
	v_fma_f64 v[70:71], -0.5, v[58:59], v[0:1]
	v_add_f64 v[56:57], v[56:57], v[48:49]
	v_add_f64 v[62:63], v[94:95], -v[102:103]
	v_add_f64 v[58:59], v[64:65], v[66:67]
	v_fma_f64 v[64:65], s[18:19], v[60:61], v[70:71]
	v_fmac_f64_e32 v[70:71], s[2:3], v[60:61]
	v_add_f64 v[66:67], v[56:57], v[52:53]
	v_add_f64 v[56:57], v[36:37], v[52:53]
	v_fmac_f64_e32 v[64:65], s[20:21], v[62:63]
	v_fmac_f64_e32 v[70:71], s[16:17], v[62:63]
	v_fmac_f64_e32 v[0:1], -0.5, v[56:57]
	v_fmac_f64_e32 v[64:65], s[0:1], v[58:59]
	v_fmac_f64_e32 v[70:71], s[0:1], v[58:59]
	v_fma_f64 v[68:69], s[2:3], v[62:63], v[0:1]
	v_add_f64 v[56:57], v[40:41], -v[36:37]
	v_add_f64 v[58:59], v[48:49], -v[52:53]
	v_fmac_f64_e32 v[0:1], s[18:19], v[62:63]
	v_fmac_f64_e32 v[68:69], s[20:21], v[60:61]
	v_add_f64 v[56:57], v[56:57], v[58:59]
	v_fmac_f64_e32 v[0:1], s[16:17], v[60:61]
	v_fmac_f64_e32 v[68:69], s[0:1], v[56:57]
	;; [unrolled: 1-line block ×3, first 2 shown]
	v_add_f64 v[56:57], v[2:3], v[82:83]
	v_add_f64 v[56:57], v[56:57], v[94:95]
	;; [unrolled: 1-line block ×5, first 2 shown]
	s_waitcnt vmcnt(0)
	v_mul_f64 v[114:115], v[72:73], v[46:47]
	v_fma_f64 v[80:81], -0.5, v[56:57], v[2:3]
	v_add_f64 v[36:37], v[36:37], -v[52:53]
	v_mul_f64 v[112:113], v[74:75], v[46:47]
	v_fmac_f64_e32 v[114:115], v[74:75], v[44:45]
	v_fma_f64 v[74:75], s[2:3], v[36:37], v[80:81]
	v_add_f64 v[40:41], v[40:41], -v[48:49]
	v_add_f64 v[48:49], v[82:83], -v[94:95]
	;; [unrolled: 1-line block ×3, first 2 shown]
	v_fmac_f64_e32 v[80:81], s[18:19], v[36:37]
	v_fmac_f64_e32 v[74:75], s[16:17], v[40:41]
	v_add_f64 v[48:49], v[48:49], v[52:53]
	v_fmac_f64_e32 v[80:81], s[20:21], v[40:41]
	v_fmac_f64_e32 v[74:75], s[0:1], v[48:49]
	;; [unrolled: 1-line block ×3, first 2 shown]
	v_add_f64 v[48:49], v[82:83], v[110:111]
	v_fmac_f64_e32 v[2:3], -0.5, v[48:49]
	v_fma_f64 v[88:89], s[18:19], v[40:41], v[2:3]
	v_fmac_f64_e32 v[2:3], s[2:3], v[40:41]
	v_fmac_f64_e32 v[88:89], s[16:17], v[36:37]
	v_fmac_f64_e32 v[2:3], s[20:21], v[36:37]
	v_add_f64 v[36:37], v[76:77], v[38:39]
	v_add_f64 v[36:37], v[36:37], v[42:43]
	v_fma_f64 v[54:55], v[72:73], v[44:45], -v[112:113]
	v_add_f64 v[36:37], v[36:37], v[50:51]
	v_add_f64 v[48:49], v[94:95], -v[82:83]
	v_add_f64 v[52:53], v[102:103], -v[110:111]
	v_add_f64 v[60:61], v[36:37], v[54:55]
	v_add_f64 v[36:37], v[42:43], v[50:51]
	;; [unrolled: 1-line block ×3, first 2 shown]
	v_fma_f64 v[58:59], -0.5, v[36:37], v[76:77]
	v_add_f64 v[36:37], v[90:91], -v[114:115]
	v_fmac_f64_e32 v[88:89], s[0:1], v[48:49]
	v_fmac_f64_e32 v[2:3], s[0:1], v[48:49]
	v_fma_f64 v[72:73], s[18:19], v[36:37], v[58:59]
	v_add_f64 v[40:41], v[98:99], -v[106:107]
	v_add_f64 v[48:49], v[38:39], -v[42:43]
	;; [unrolled: 1-line block ×3, first 2 shown]
	v_fmac_f64_e32 v[58:59], s[2:3], v[36:37]
	v_fmac_f64_e32 v[72:73], s[20:21], v[40:41]
	v_add_f64 v[48:49], v[48:49], v[52:53]
	v_fmac_f64_e32 v[58:59], s[16:17], v[40:41]
	v_fmac_f64_e32 v[72:73], s[0:1], v[48:49]
	;; [unrolled: 1-line block ×3, first 2 shown]
	v_add_f64 v[48:49], v[38:39], v[54:55]
	v_fmac_f64_e32 v[76:77], -0.5, v[48:49]
	v_fma_f64 v[82:83], s[2:3], v[40:41], v[76:77]
	v_fmac_f64_e32 v[76:77], s[18:19], v[40:41]
	v_fmac_f64_e32 v[82:83], s[20:21], v[36:37]
	;; [unrolled: 1-line block ×3, first 2 shown]
	v_add_f64 v[36:37], v[78:79], v[90:91]
	v_add_f64 v[36:37], v[36:37], v[98:99]
	;; [unrolled: 1-line block ×5, first 2 shown]
	v_fma_f64 v[94:95], -0.5, v[36:37], v[78:79]
	v_add_f64 v[36:37], v[38:39], -v[54:55]
	v_add_f64 v[48:49], v[42:43], -v[38:39]
	v_add_f64 v[52:53], v[50:51], -v[54:55]
	v_fma_f64 v[54:55], s[2:3], v[36:37], v[94:95]
	v_add_f64 v[38:39], v[42:43], -v[50:51]
	v_add_f64 v[40:41], v[90:91], -v[98:99]
	;; [unrolled: 1-line block ×3, first 2 shown]
	v_fmac_f64_e32 v[94:95], s[18:19], v[36:37]
	v_fmac_f64_e32 v[54:55], s[16:17], v[38:39]
	v_add_f64 v[40:41], v[40:41], v[42:43]
	v_fmac_f64_e32 v[94:95], s[20:21], v[38:39]
	v_fmac_f64_e32 v[54:55], s[0:1], v[40:41]
	;; [unrolled: 1-line block ×3, first 2 shown]
	v_add_f64 v[40:41], v[90:91], v[114:115]
	v_fmac_f64_e32 v[78:79], -0.5, v[40:41]
	v_fma_f64 v[50:51], s[18:19], v[38:39], v[78:79]
	v_add_f64 v[40:41], v[98:99], -v[90:91]
	v_add_f64 v[42:43], v[106:107], -v[114:115]
	v_fmac_f64_e32 v[78:79], s[2:3], v[38:39]
	v_add_f64 v[40:41], v[40:41], v[42:43]
	v_fmac_f64_e32 v[78:79], s[20:21], v[36:37]
	v_add_f64 v[48:49], v[48:49], v[52:53]
	v_fmac_f64_e32 v[78:79], s[0:1], v[40:41]
	v_mul_f64 v[102:103], v[72:73], s[16:17]
	v_fmac_f64_e32 v[76:77], s[0:1], v[48:49]
	v_fmac_f64_e32 v[50:51], s[16:17], v[36:37]
	v_mul_f64 v[90:91], v[54:55], s[20:21]
	v_fmac_f64_e32 v[102:103], s[22:23], v[54:55]
	v_mul_f64 v[54:55], v[78:79], s[0:1]
	;; [unrolled: 2-line block ×3, first 2 shown]
	v_fma_f64 v[76:77], v[76:77], s[2:3], -v[54:55]
	v_fmac_f64_e32 v[82:83], s[0:1], v[48:49]
	v_add_f64 v[36:37], v[66:67], v[60:61]
	v_mul_f64 v[96:97], v[50:51], s[18:19]
	v_add_f64 v[42:43], v[74:75], v[102:103]
	v_add_f64 v[54:55], v[2:3], v[76:77]
	v_add_f64 v[60:61], v[66:67], -v[60:61]
	v_add_f64 v[66:67], v[74:75], -v[102:103]
	;; [unrolled: 1-line block ×3, first 2 shown]
	v_mul_u32_u24_e32 v76, 0x6e, v116
	v_fmac_f64_e32 v[90:91], s[22:23], v[72:73]
	v_fmac_f64_e32 v[96:97], s[0:1], v[82:83]
	v_fma_f64 v[98:99], v[78:79], s[18:19], -v[38:39]
	v_mul_f64 v[38:39], v[58:59], s[22:23]
	v_mul_f64 v[82:83], v[82:83], s[2:3]
	;; [unrolled: 1-line block ×3, first 2 shown]
	v_add_u32_e32 v76, v76, v117
	v_fma_f64 v[100:101], v[94:95], s[20:21], -v[38:39]
	v_add_f64 v[38:39], v[62:63], v[92:93]
	v_fmac_f64_e32 v[82:83], s[0:1], v[50:51]
	v_fma_f64 v[78:79], v[58:59], s[16:17], -v[72:73]
	v_add_f64 v[72:73], v[0:1], -v[98:99]
	v_add_lshl_u32 v220, v135, v76, 4
	v_add_f64 v[40:41], v[64:65], v[90:91]
	v_add_f64 v[48:49], v[68:69], v[96:97]
	;; [unrolled: 1-line block ×6, first 2 shown]
	v_add_f64 v[64:65], v[64:65], -v[90:91]
	v_add_f64 v[68:69], v[68:69], -v[96:97]
	;; [unrolled: 1-line block ×6, first 2 shown]
	ds_write_b128 v220, v[36:39]
	ds_write_b128 v220, v[40:43] offset:176
	ds_write_b128 v220, v[48:51] offset:352
	ds_write_b128 v220, v[52:55] offset:528
	ds_write_b128 v220, v[56:59] offset:704
	ds_write_b128 v220, v[60:63] offset:880
	ds_write_b128 v220, v[64:67] offset:1056
	ds_write_b128 v220, v[68:71] offset:1232
	ds_write_b128 v220, v[72:75] offset:1408
	ds_write_b128 v220, v[0:3] offset:1584
	s_waitcnt lgkmcnt(0)
	s_barrier
	ds_read_b128 v[72:75], v219
	ds_read_b128 v[76:79], v219 offset:528
	ds_read_b128 v[110:113], v219 offset:3520
	;; [unrolled: 1-line block ×8, first 2 shown]
	v_cmp_gt_u16_e64 s[2:3], 11, v132
                                        ; implicit-def: $vgpr102_vgpr103
	s_and_saveexec_b64 s[0:1], s[2:3]
	s_cbranch_execz .LBB0_9
; %bb.8:
	ds_read_b128 v[0:3], v219 offset:1584
	ds_read_b128 v[84:87], v219 offset:3344
	;; [unrolled: 1-line block ×3, first 2 shown]
.LBB0_9:
	s_or_b64 exec, exec, s[0:1]
	v_lshlrev_b32_e32 v36, 5, v132
	global_load_dwordx4 v[52:55], v36, s[6:7] offset:1584
	global_load_dwordx4 v[48:51], v36, s[6:7] offset:1600
	v_add_u32_e32 v37, 0x420, v36
	v_add_u32_e32 v36, 0x840, v36
	s_mov_b64 s[0:1], 0x63
	global_load_dwordx4 v[60:63], v37, s[6:7] offset:1584
	global_load_dwordx4 v[56:59], v37, s[6:7] offset:1600
	;; [unrolled: 1-line block ×4, first 2 shown]
	v_lshl_add_u64 v[36:37], v[132:133], 0, -11
	v_lshl_add_u64 v[38:39], v[132:133], 0, s[0:1]
	v_cndmask_b32_e64 v37, v37, v39, s[2:3]
	v_cndmask_b32_e64 v36, v36, v38, s[2:3]
	v_lshlrev_b64 v[36:37], 5, v[36:37]
	v_lshl_add_u64 v[100:101], s[6:7], 0, v[36:37]
	global_load_dwordx4 v[40:43], v[100:101], off offset:1584
	global_load_dwordx4 v[36:39], v[100:101], off offset:1600
	s_mov_b32 s0, 0xe8584caa
	s_mov_b32 s1, 0x3febb67a
	;; [unrolled: 1-line block ×4, first 2 shown]
	v_lshl_add_u32 v133, v132, 4, v218
	v_add_u32_e32 v221, v136, v218
	s_waitcnt vmcnt(7) lgkmcnt(4)
	v_mul_f64 v[100:101], v[116:117], v[54:55]
	v_mul_f64 v[118:119], v[114:115], v[54:55]
	s_waitcnt vmcnt(6)
	v_mul_f64 v[120:121], v[112:113], v[50:51]
	v_mul_f64 v[122:123], v[110:111], v[50:51]
	v_fma_f64 v[100:101], v[114:115], v[52:53], -v[100:101]
	v_fmac_f64_e32 v[118:119], v[116:117], v[52:53]
	v_fma_f64 v[110:111], v[110:111], v[48:49], -v[120:121]
	v_fmac_f64_e32 v[122:123], v[112:113], v[48:49]
	s_waitcnt vmcnt(5) lgkmcnt(2)
	v_mul_f64 v[112:113], v[108:109], v[62:63]
	v_mul_f64 v[114:115], v[106:107], v[62:63]
	s_waitcnt vmcnt(4)
	v_mul_f64 v[116:117], v[90:91], v[58:59]
	v_mul_f64 v[120:121], v[88:89], v[58:59]
	s_waitcnt vmcnt(3) lgkmcnt(1)
	v_mul_f64 v[124:125], v[98:99], v[70:71]
	s_waitcnt vmcnt(2) lgkmcnt(0)
	v_mul_f64 v[128:129], v[94:95], v[66:67]
	v_mul_f64 v[126:127], v[96:97], v[70:71]
	;; [unrolled: 1-line block ×3, first 2 shown]
	v_fma_f64 v[106:107], v[106:107], v[60:61], -v[112:113]
	v_fmac_f64_e32 v[114:115], v[108:109], v[60:61]
	v_fma_f64 v[108:109], v[88:89], v[56:57], -v[116:117]
	v_fmac_f64_e32 v[120:121], v[90:91], v[56:57]
	v_fma_f64 v[112:113], v[96:97], v[68:69], -v[124:125]
	v_fma_f64 v[116:117], v[92:93], v[64:65], -v[128:129]
	v_add_f64 v[90:91], v[100:101], v[110:111]
	v_add_f64 v[96:97], v[118:119], v[122:123]
	v_fmac_f64_e32 v[126:127], v[98:99], v[68:69]
	v_fmac_f64_e32 v[130:131], v[94:95], v[64:65]
	v_add_f64 v[88:89], v[72:73], v[100:101]
	v_add_f64 v[94:95], v[118:119], -v[122:123]
	v_add_f64 v[92:93], v[74:75], v[118:119]
	v_add_f64 v[98:99], v[100:101], -v[110:111]
	v_fmac_f64_e32 v[72:73], -0.5, v[90:91]
	v_fmac_f64_e32 v[74:75], -0.5, v[96:97]
	v_add_f64 v[118:119], v[78:79], v[114:115]
	v_add_f64 v[124:125], v[112:113], v[116:117]
	s_waitcnt vmcnt(0)
	v_mul_f64 v[140:141], v[104:105], v[38:39]
	v_mul_f64 v[142:143], v[102:103], v[38:39]
	v_add_f64 v[88:89], v[88:89], v[110:111]
	v_add_f64 v[90:91], v[92:93], v[122:123]
	;; [unrolled: 1-line block ×4, first 2 shown]
	v_add_f64 v[110:111], v[114:115], -v[120:121]
	v_add_f64 v[114:115], v[114:115], v[120:121]
	v_add_f64 v[122:123], v[80:81], v[112:113]
	v_mul_f64 v[128:129], v[86:87], v[42:43]
	v_fma_f64 v[92:93], s[0:1], v[94:95], v[72:73]
	v_fmac_f64_e32 v[72:73], s[6:7], v[94:95]
	v_fma_f64 v[94:95], s[6:7], v[98:99], v[74:75]
	v_fmac_f64_e32 v[74:75], s[0:1], v[98:99]
	v_add_f64 v[98:99], v[118:119], v[120:121]
	v_fmac_f64_e32 v[80:81], -0.5, v[124:125]
	v_fma_f64 v[120:121], v[102:103], v[36:37], -v[140:141]
	v_fmac_f64_e32 v[142:143], v[104:105], v[36:37]
	v_add_f64 v[102:103], v[126:127], -v[130:131]
	v_add_f64 v[104:105], v[126:127], v[130:131]
	v_add_f64 v[106:107], v[106:107], -v[108:109]
	v_add_f64 v[96:97], v[96:97], v[108:109]
	v_fmac_f64_e32 v[76:77], -0.5, v[100:101]
	v_fma_f64 v[118:119], v[84:85], v[40:41], -v[128:129]
	v_fma_f64 v[108:109], s[0:1], v[102:103], v[80:81]
	v_fmac_f64_e32 v[80:81], s[6:7], v[102:103]
	v_add_f64 v[102:103], v[82:83], v[126:127]
	v_fmac_f64_e32 v[82:83], -0.5, v[104:105]
	v_add_f64 v[104:105], v[112:113], -v[116:117]
	v_mul_f64 v[138:139], v[84:85], v[42:43]
	v_fma_f64 v[84:85], s[0:1], v[110:111], v[76:77]
	v_fmac_f64_e32 v[76:77], s[6:7], v[110:111]
	v_fma_f64 v[110:111], s[6:7], v[104:105], v[82:83]
	v_fmac_f64_e32 v[82:83], s[0:1], v[104:105]
	v_add_f64 v[104:105], v[0:1], v[118:119]
	v_fmac_f64_e32 v[138:139], v[86:87], v[40:41]
	v_add_f64 v[112:113], v[104:105], v[120:121]
	v_add_f64 v[104:105], v[118:119], v[120:121]
	v_fmac_f64_e32 v[0:1], -0.5, v[104:105]
	v_add_f64 v[104:105], v[138:139], -v[142:143]
	v_add_f64 v[100:101], v[122:123], v[116:117]
	v_fma_f64 v[116:117], s[0:1], v[104:105], v[0:1]
	v_fmac_f64_e32 v[0:1], s[6:7], v[104:105]
	v_add_f64 v[104:105], v[2:3], v[138:139]
	v_fmac_f64_e32 v[78:79], -0.5, v[114:115]
	v_add_f64 v[114:115], v[104:105], v[142:143]
	v_add_f64 v[104:105], v[138:139], v[142:143]
	v_fmac_f64_e32 v[2:3], -0.5, v[104:105]
	v_add_f64 v[104:105], v[118:119], -v[120:121]
	v_fma_f64 v[86:87], s[6:7], v[106:107], v[78:79]
	v_fmac_f64_e32 v[78:79], s[0:1], v[106:107]
	v_add_f64 v[102:103], v[102:103], v[130:131]
	v_fma_f64 v[118:119], s[6:7], v[104:105], v[2:3]
	v_fmac_f64_e32 v[2:3], s[0:1], v[104:105]
	ds_write_b128 v133, v[88:91]
	ds_write_b128 v133, v[92:95] offset:1760
	ds_write_b128 v133, v[72:75] offset:3520
	;; [unrolled: 1-line block ×8, first 2 shown]
	s_and_saveexec_b64 s[0:1], s[2:3]
	s_cbranch_execz .LBB0_11
; %bb.10:
	ds_write_b128 v133, v[112:115] offset:1584
	ds_write_b128 v133, v[116:119] offset:3344
	;; [unrolled: 1-line block ×3, first 2 shown]
.LBB0_11:
	s_or_b64 exec, exec, s[0:1]
	s_waitcnt lgkmcnt(0)
	s_barrier
	s_and_saveexec_b64 s[0:1], s[4:5]
	s_cbranch_execz .LBB0_13
; %bb.12:
	v_mov_b32_e32 v137, 0
	v_lshl_add_u64 v[104:105], s[12:13], 0, v[136:137]
	v_add_co_u32_e32 v124, vcc, 0x1000, v104
	ds_read_b128 v[120:123], v133
	s_nop 0
	v_addc_co_u32_e32 v125, vcc, 0, v105, vcc
	global_load_dwordx4 v[124:127], v[124:125], off offset:1184
	s_mov_b64 s[6:7], 0x14a0
	v_lshl_add_u64 v[106:107], v[104:105], 0, s[6:7]
	s_movk_i32 s6, 0x2000
	s_waitcnt vmcnt(0) lgkmcnt(0)
	v_mul_f64 v[128:129], v[122:123], v[126:127]
	v_mul_f64 v[130:131], v[120:121], v[126:127]
	v_fma_f64 v[128:129], v[120:121], v[124:125], -v[128:129]
	v_fmac_f64_e32 v[130:131], v[122:123], v[124:125]
	global_load_dwordx4 v[124:127], v[106:107], off offset:480
	ds_read_b128 v[120:123], v133 offset:480
	ds_write_b128 v133, v[128:131]
	s_waitcnt vmcnt(0) lgkmcnt(1)
	v_mul_f64 v[128:129], v[122:123], v[126:127]
	v_mul_f64 v[130:131], v[120:121], v[126:127]
	v_fma_f64 v[128:129], v[120:121], v[124:125], -v[128:129]
	v_fmac_f64_e32 v[130:131], v[122:123], v[124:125]
	global_load_dwordx4 v[124:127], v[106:107], off offset:960
	ds_read_b128 v[120:123], v133 offset:960
	ds_write_b128 v133, v[128:131] offset:480
	s_waitcnt vmcnt(0) lgkmcnt(1)
	v_mul_f64 v[128:129], v[122:123], v[126:127]
	v_mul_f64 v[130:131], v[120:121], v[126:127]
	v_fma_f64 v[128:129], v[120:121], v[124:125], -v[128:129]
	v_fmac_f64_e32 v[130:131], v[122:123], v[124:125]
	global_load_dwordx4 v[124:127], v[106:107], off offset:1440
	ds_read_b128 v[120:123], v133 offset:1440
	ds_write_b128 v133, v[128:131] offset:960
	s_waitcnt vmcnt(0) lgkmcnt(1)
	v_mul_f64 v[128:129], v[122:123], v[126:127]
	v_mul_f64 v[130:131], v[120:121], v[126:127]
	v_fma_f64 v[128:129], v[120:121], v[124:125], -v[128:129]
	v_fmac_f64_e32 v[130:131], v[122:123], v[124:125]
	global_load_dwordx4 v[124:127], v[106:107], off offset:1920
	ds_read_b128 v[120:123], v133 offset:1920
	ds_write_b128 v133, v[128:131] offset:1440
	s_waitcnt vmcnt(0) lgkmcnt(1)
	v_mul_f64 v[128:129], v[122:123], v[126:127]
	v_mul_f64 v[130:131], v[120:121], v[126:127]
	v_fma_f64 v[128:129], v[120:121], v[124:125], -v[128:129]
	v_fmac_f64_e32 v[130:131], v[122:123], v[124:125]
	global_load_dwordx4 v[124:127], v[106:107], off offset:2400
	ds_read_b128 v[120:123], v133 offset:2400
	ds_write_b128 v133, v[128:131] offset:1920
	s_waitcnt vmcnt(0) lgkmcnt(1)
	v_mul_f64 v[128:129], v[122:123], v[126:127]
	v_mul_f64 v[130:131], v[120:121], v[126:127]
	v_fma_f64 v[128:129], v[120:121], v[124:125], -v[128:129]
	v_fmac_f64_e32 v[130:131], v[122:123], v[124:125]
	global_load_dwordx4 v[124:127], v[106:107], off offset:2880
	ds_read_b128 v[120:123], v133 offset:2880
	ds_write_b128 v133, v[128:131] offset:2400
	s_waitcnt vmcnt(0) lgkmcnt(1)
	v_mul_f64 v[128:129], v[122:123], v[126:127]
	v_mul_f64 v[130:131], v[120:121], v[126:127]
	v_fma_f64 v[128:129], v[120:121], v[124:125], -v[128:129]
	v_fmac_f64_e32 v[130:131], v[122:123], v[124:125]
	global_load_dwordx4 v[124:127], v[106:107], off offset:3360
	ds_read_b128 v[120:123], v133 offset:3360
	ds_write_b128 v133, v[128:131] offset:2880
	s_waitcnt vmcnt(0) lgkmcnt(1)
	v_mul_f64 v[128:129], v[122:123], v[126:127]
	v_mul_f64 v[130:131], v[120:121], v[126:127]
	v_fma_f64 v[128:129], v[120:121], v[124:125], -v[128:129]
	v_fmac_f64_e32 v[130:131], v[122:123], v[124:125]
	global_load_dwordx4 v[124:127], v[106:107], off offset:3840
	ds_read_b128 v[120:123], v133 offset:3840
	ds_write_b128 v133, v[128:131] offset:3360
	s_waitcnt vmcnt(0) lgkmcnt(1)
	v_mul_f64 v[106:107], v[122:123], v[126:127]
	v_mul_f64 v[130:131], v[120:121], v[126:127]
	v_fma_f64 v[128:129], v[120:121], v[124:125], -v[106:107]
	v_fmac_f64_e32 v[130:131], v[122:123], v[124:125]
	ds_write_b128 v133, v[128:131] offset:3840
	v_add_co_u32_e32 v128, vcc, s6, v104
	ds_read_b128 v[120:123], v133 offset:4320
	s_nop 0
	v_addc_co_u32_e32 v129, vcc, 0, v105, vcc
	global_load_dwordx4 v[104:107], v[128:129], off offset:1408
	s_waitcnt vmcnt(0) lgkmcnt(0)
	v_mul_f64 v[124:125], v[122:123], v[106:107]
	v_mul_f64 v[126:127], v[120:121], v[106:107]
	v_fma_f64 v[124:125], v[120:121], v[104:105], -v[124:125]
	v_fmac_f64_e32 v[126:127], v[122:123], v[104:105]
	global_load_dwordx4 v[120:123], v[128:129], off offset:1888
	ds_read_b128 v[104:107], v133 offset:4800
	ds_write_b128 v133, v[124:127] offset:4320
	s_waitcnt vmcnt(0) lgkmcnt(1)
	v_mul_f64 v[124:125], v[106:107], v[122:123]
	v_mul_f64 v[126:127], v[104:105], v[122:123]
	v_fma_f64 v[124:125], v[104:105], v[120:121], -v[124:125]
	v_fmac_f64_e32 v[126:127], v[106:107], v[120:121]
	ds_write_b128 v133, v[124:127] offset:4800
.LBB0_13:
	s_or_b64 exec, exec, s[0:1]
	s_waitcnt lgkmcnt(0)
	s_barrier
	s_and_saveexec_b64 s[0:1], s[4:5]
	s_cbranch_execz .LBB0_15
; %bb.14:
	ds_read_b128 v[88:91], v133
	ds_read_b128 v[92:95], v133 offset:480
	ds_read_b128 v[72:75], v133 offset:960
	;; [unrolled: 1-line block ×10, first 2 shown]
.LBB0_15:
	s_or_b64 exec, exec, s[0:1]
	s_mov_b32 s28, 0xf8bb580b
	s_waitcnt lgkmcnt(0)
	v_add_f64 v[154:155], v[94:95], -v[118:119]
	s_mov_b32 s6, 0x8764f0ba
	s_mov_b32 s29, 0xbfe14ced
	;; [unrolled: 1-line block ×3, first 2 shown]
	v_add_f64 v[140:141], v[92:93], v[116:117]
	v_add_f64 v[146:147], v[94:95], v[118:119]
	s_mov_b32 s7, 0x3feaeb8c
	v_mul_f64 v[138:139], v[154:155], s[28:29]
	v_add_f64 v[166:167], v[74:75], -v[114:115]
	s_mov_b32 s16, 0xd9c712b6
	s_mov_b32 s21, 0xbfed1bb4
	v_add_f64 v[162:163], v[92:93], -v[116:117]
	v_mul_f64 v[142:143], v[146:147], s[6:7]
	v_fma_f64 v[104:105], v[140:141], s[6:7], -v[138:139]
	v_add_f64 v[148:149], v[72:73], v[112:113]
	v_add_f64 v[156:157], v[74:75], v[114:115]
	s_mov_b32 s17, 0x3fda9628
	v_mul_f64 v[144:145], v[166:167], s[20:21]
	s_mov_b32 s34, 0x43842ef
	v_add_f64 v[104:105], v[88:89], v[104:105]
	v_fma_f64 v[106:107], s[28:29], v[162:163], v[142:143]
	v_add_f64 v[174:175], v[72:73], -v[112:113]
	v_mul_f64 v[150:151], v[156:157], s[16:17]
	v_fma_f64 v[120:121], v[148:149], s[16:17], -v[144:145]
	v_add_f64 v[178:179], v[98:99], -v[82:83]
	s_mov_b32 s18, 0x640f44db
	s_mov_b32 s35, 0xbfefac9e
	v_add_f64 v[106:107], v[90:91], v[106:107]
	v_add_f64 v[104:105], v[120:121], v[104:105]
	v_fma_f64 v[120:121], s[20:21], v[174:175], v[150:151]
	v_add_f64 v[158:159], v[96:97], v[80:81]
	v_add_f64 v[168:169], v[98:99], v[82:83]
	s_mov_b32 s19, 0xbfc2375f
	v_mul_f64 v[152:153], v[178:179], s[34:35]
	v_add_f64 v[106:107], v[120:121], v[106:107]
	v_add_f64 v[192:193], v[96:97], -v[80:81]
	v_mul_f64 v[160:161], v[168:169], s[18:19]
	v_fma_f64 v[120:121], v[158:159], s[18:19], -v[152:153]
	v_add_f64 v[200:201], v[86:87], -v[110:111]
	s_mov_b32 s22, 0x7f775887
	v_add_f64 v[104:105], v[120:121], v[104:105]
	v_fma_f64 v[120:121], s[34:35], v[192:193], v[160:161]
	v_add_f64 v[170:171], v[84:85], v[108:109]
	v_add_f64 v[180:181], v[86:87], v[110:111]
	s_mov_b32 s23, 0xbfe4f49e
	v_mul_f64 v[164:165], v[200:201], s[26:27]
	v_add_f64 v[106:107], v[120:121], v[106:107]
	v_add_f64 v[212:213], v[84:85], -v[108:109]
	v_mul_f64 v[172:173], v[180:181], s[22:23]
	v_fma_f64 v[120:121], v[170:171], s[22:23], -v[164:165]
	v_add_f64 v[214:215], v[78:79], -v[102:103]
	s_mov_b32 s31, 0xbfd207e7
	s_mov_b32 s30, 0xfd768dbf
	v_add_f64 v[104:105], v[120:121], v[104:105]
	v_fma_f64 v[120:121], s[26:27], v[212:213], v[172:173]
	v_add_f64 v[188:189], v[76:77], v[100:101]
	v_add_f64 v[204:205], v[78:79], v[102:103]
	v_mul_f64 v[176:177], v[214:215], s[30:31]
	v_add_f64 v[106:107], v[120:121], v[106:107]
	v_add_f64 v[216:217], v[76:77], -v[100:101]
	v_mul_f64 v[184:185], v[204:205], s[24:25]
	v_fma_f64 v[120:121], v[188:189], s[24:25], -v[176:177]
	v_add_f64 v[104:105], v[120:121], v[104:105]
	v_fma_f64 v[120:121], s[30:31], v[216:217], v[184:185]
	v_add_f64 v[106:107], v[120:121], v[106:107]
	s_barrier
	s_and_saveexec_b64 s[0:1], s[4:5]
	s_cbranch_execz .LBB0_17
; %bb.16:
	s_mov_b32 s37, 0x3fe14ced
	s_mov_b32 s36, s28
	v_mul_f64 v[226:227], v[162:163], s[30:31]
	v_mul_f64 v[222:223], v[174:175], s[36:37]
	v_fma_f64 v[228:229], s[24:25], v[146:147], v[226:227]
	v_fma_f64 v[226:227], v[146:147], s[24:25], -v[226:227]
	s_mov_b32 s39, 0x3fed1bb4
	s_mov_b32 s38, s20
	v_mul_f64 v[128:129], v[192:193], s[26:27]
	v_fma_f64 v[224:225], s[6:7], v[156:157], v[222:223]
	v_fma_f64 v[222:223], v[156:157], s[6:7], -v[222:223]
	v_add_f64 v[226:227], v[90:91], v[226:227]
	v_mul_f64 v[120:121], v[140:141], s[6:7]
	v_mul_f64 v[126:127], v[212:213], s[38:39]
	v_fma_f64 v[130:131], s[22:23], v[168:169], v[128:129]
	v_fma_f64 v[128:129], v[168:169], s[22:23], -v[128:129]
	v_add_f64 v[222:223], v[222:223], v[226:227]
	v_accvgpr_write_b32 a0, v120
	v_mul_f64 v[124:125], v[216:217], s[34:35]
	v_fma_f64 v[122:123], s[16:17], v[180:181], v[126:127]
	v_mul_f64 v[238:239], v[154:155], s[30:31]
	v_fma_f64 v[126:127], v[180:181], s[16:17], -v[126:127]
	v_add_f64 v[128:129], v[128:129], v[222:223]
	v_accvgpr_write_b32 a1, v121
	v_fma_f64 v[120:121], s[18:19], v[204:205], v[124:125]
	v_add_f64 v[228:229], v[90:91], v[228:229]
	v_mul_f64 v[234:235], v[166:167], s[36:37]
	v_fma_f64 v[240:241], v[140:141], s[24:25], -v[238:239]
	v_fma_f64 v[124:125], v[204:205], s[18:19], -v[124:125]
	v_add_f64 v[126:127], v[126:127], v[128:129]
	v_fmac_f64_e32 v[238:239], s[24:25], v[140:141]
	v_add_f64 v[224:225], v[224:225], v[228:229]
	v_mul_f64 v[230:231], v[178:179], s[26:27]
	v_fma_f64 v[236:237], v[148:149], s[6:7], -v[234:235]
	v_add_f64 v[240:241], v[88:89], v[240:241]
	v_add_f64 v[126:127], v[124:125], v[126:127]
	v_fmac_f64_e32 v[234:235], s[6:7], v[148:149]
	v_add_f64 v[124:125], v[88:89], v[238:239]
	v_add_f64 v[130:131], v[130:131], v[224:225]
	v_mul_f64 v[224:225], v[200:201], s[38:39]
	v_fma_f64 v[232:233], v[158:159], s[22:23], -v[230:231]
	v_add_f64 v[236:237], v[236:237], v[240:241]
	v_fmac_f64_e32 v[230:231], s[22:23], v[158:159]
	v_add_f64 v[124:125], v[234:235], v[124:125]
	s_mov_b32 s41, 0x3fefac9e
	s_mov_b32 s40, s34
	v_mul_f64 v[234:235], v[162:163], s[26:27]
	v_add_f64 v[122:123], v[122:123], v[130:131]
	v_mul_f64 v[130:131], v[214:215], s[34:35]
	v_fma_f64 v[228:229], v[170:171], s[16:17], -v[224:225]
	v_add_f64 v[232:233], v[232:233], v[236:237]
	v_add_f64 v[124:125], v[230:231], v[124:125]
	v_mul_f64 v[230:231], v[174:175], s[40:41]
	v_fma_f64 v[236:237], s[22:23], v[146:147], v[234:235]
	v_fma_f64 v[234:235], v[146:147], s[22:23], -v[234:235]
	v_add_f64 v[122:123], v[120:121], v[122:123]
	v_fma_f64 v[120:121], v[188:189], s[18:19], -v[130:131]
	v_add_f64 v[228:229], v[228:229], v[232:233]
	v_fmac_f64_e32 v[224:225], s[16:17], v[170:171]
	v_mul_f64 v[226:227], v[192:193], s[28:29]
	v_fma_f64 v[232:233], s[18:19], v[156:157], v[230:231]
	v_fma_f64 v[230:231], v[156:157], s[18:19], -v[230:231]
	v_add_f64 v[234:235], v[90:91], v[234:235]
	v_add_f64 v[120:121], v[120:121], v[228:229]
	v_fmac_f64_e32 v[130:131], s[18:19], v[188:189]
	v_add_f64 v[124:125], v[224:225], v[124:125]
	v_mul_f64 v[224:225], v[212:213], s[30:31]
	v_fma_f64 v[228:229], s[6:7], v[168:169], v[226:227]
	v_fma_f64 v[226:227], v[168:169], s[6:7], -v[226:227]
	v_add_f64 v[230:231], v[230:231], v[234:235]
	v_add_f64 v[124:125], v[130:131], v[124:125]
	v_mul_f64 v[222:223], v[216:217], s[38:39]
	v_fma_f64 v[130:131], s[24:25], v[180:181], v[224:225]
	v_mul_f64 v[246:247], v[154:155], s[26:27]
	v_fma_f64 v[224:225], v[180:181], s[24:25], -v[224:225]
	v_add_f64 v[226:227], v[226:227], v[230:231]
	v_fma_f64 v[128:129], s[16:17], v[204:205], v[222:223]
	v_add_f64 v[236:237], v[90:91], v[236:237]
	v_mul_f64 v[242:243], v[166:167], s[40:41]
	v_fma_f64 v[248:249], v[140:141], s[22:23], -v[246:247]
	v_fma_f64 v[222:223], v[204:205], s[16:17], -v[222:223]
	v_add_f64 v[224:225], v[224:225], v[226:227]
	v_fmac_f64_e32 v[246:247], s[22:23], v[140:141]
	v_add_f64 v[232:233], v[232:233], v[236:237]
	v_mul_f64 v[238:239], v[178:179], s[28:29]
	v_fma_f64 v[244:245], v[148:149], s[18:19], -v[242:243]
	v_add_f64 v[248:249], v[88:89], v[248:249]
	v_add_f64 v[224:225], v[222:223], v[224:225]
	v_fmac_f64_e32 v[242:243], s[18:19], v[148:149]
	v_add_f64 v[222:223], v[88:89], v[246:247]
	v_mul_f64 v[210:211], v[216:217], s[30:31]
	v_add_f64 v[228:229], v[228:229], v[232:233]
	v_mul_f64 v[232:233], v[200:201], s[30:31]
	v_fma_f64 v[240:241], v[158:159], s[6:7], -v[238:239]
	v_add_f64 v[244:245], v[244:245], v[248:249]
	v_fmac_f64_e32 v[238:239], s[6:7], v[158:159]
	v_add_f64 v[222:223], v[242:243], v[222:223]
	s_mov_b32 s31, 0x3fd207e7
	v_mul_f64 v[242:243], v[162:163], s[34:35]
	v_add_f64 v[130:131], v[130:131], v[228:229]
	v_mul_f64 v[228:229], v[214:215], s[38:39]
	v_fma_f64 v[236:237], v[170:171], s[24:25], -v[232:233]
	v_add_f64 v[240:241], v[240:241], v[244:245]
	v_add_f64 v[222:223], v[238:239], v[222:223]
	v_mul_f64 v[238:239], v[174:175], s[30:31]
	v_fma_f64 v[244:245], s[18:19], v[146:147], v[242:243]
	v_mul_f64 v[254:255], v[154:155], s[34:35]
	v_add_f64 v[130:131], v[128:129], v[130:131]
	v_fma_f64 v[128:129], v[188:189], s[16:17], -v[228:229]
	v_add_f64 v[236:237], v[236:237], v[240:241]
	v_fmac_f64_e32 v[232:233], s[24:25], v[170:171]
	v_mul_f64 v[234:235], v[192:193], s[38:39]
	v_fma_f64 v[240:241], s[24:25], v[156:157], v[238:239]
	v_add_f64 v[244:245], v[90:91], v[244:245]
	v_mul_f64 v[250:251], v[166:167], s[30:31]
	v_fma_f64 v[182:183], v[140:141], s[18:19], -v[254:255]
	v_add_f64 v[128:129], v[128:129], v[236:237]
	v_fmac_f64_e32 v[228:229], s[16:17], v[188:189]
	v_add_f64 v[222:223], v[232:233], v[222:223]
	v_mul_f64 v[232:233], v[212:213], s[28:29]
	v_fma_f64 v[236:237], s[16:17], v[168:169], v[234:235]
	v_add_f64 v[240:241], v[240:241], v[244:245]
	v_mul_f64 v[246:247], v[178:179], s[38:39]
	v_fma_f64 v[252:253], v[148:149], s[24:25], -v[250:251]
	v_add_f64 v[182:183], v[88:89], v[182:183]
	v_add_f64 v[222:223], v[228:229], v[222:223]
	v_mul_f64 v[230:231], v[216:217], s[26:27]
	v_fma_f64 v[228:229], s[6:7], v[180:181], v[232:233]
	v_add_f64 v[236:237], v[236:237], v[240:241]
	v_mul_f64 v[240:241], v[200:201], s[28:29]
	v_fma_f64 v[248:249], v[158:159], s[16:17], -v[246:247]
	v_add_f64 v[182:183], v[252:253], v[182:183]
	v_fma_f64 v[226:227], s[22:23], v[204:205], v[230:231]
	v_add_f64 v[228:229], v[228:229], v[236:237]
	v_mul_f64 v[236:237], v[214:215], s[26:27]
	v_fma_f64 v[244:245], v[170:171], s[6:7], -v[240:241]
	v_add_f64 v[182:183], v[248:249], v[182:183]
	v_add_f64 v[228:229], v[226:227], v[228:229]
	v_fma_f64 v[226:227], v[188:189], s[22:23], -v[236:237]
	v_add_f64 v[182:183], v[244:245], v[182:183]
	v_add_f64 v[226:227], v[226:227], v[182:183]
	v_fma_f64 v[182:183], v[204:205], s[22:23], -v[230:231]
	v_fma_f64 v[230:231], v[180:181], s[6:7], -v[232:233]
	;; [unrolled: 1-line block ×5, first 2 shown]
	v_add_f64 v[238:239], v[90:91], v[238:239]
	v_add_f64 v[234:235], v[234:235], v[238:239]
	;; [unrolled: 1-line block ×4, first 2 shown]
	v_fmac_f64_e32 v[254:255], s[18:19], v[140:141]
	v_add_f64 v[232:233], v[182:183], v[230:231]
	v_fmac_f64_e32 v[250:251], s[24:25], v[148:149]
	v_add_f64 v[182:183], v[88:89], v[254:255]
	;; [unrolled: 2-line block ×3, first 2 shown]
	v_mul_f64 v[198:199], v[162:163], s[28:29]
	v_fmac_f64_e32 v[240:241], s[6:7], v[170:171]
	v_add_f64 v[182:183], v[246:247], v[182:183]
	v_mul_f64 v[162:163], v[162:163], s[20:21]
	v_add_f64 v[182:183], v[240:241], v[182:183]
	v_fma_f64 v[240:241], s[16:17], v[146:147], v[162:163]
	v_fma_f64 v[146:147], v[146:147], s[16:17], -v[162:163]
	v_add_f64 v[142:143], v[142:143], -v[198:199]
	v_add_f64 v[240:241], v[90:91], v[240:241]
	v_add_f64 v[146:147], v[90:91], v[146:147]
	;; [unrolled: 1-line block ×9, first 2 shown]
	v_mul_f64 v[202:203], v[174:175], s[20:21]
	v_mul_f64 v[174:175], v[174:175], s[26:27]
	v_add_f64 v[72:73], v[78:79], v[72:73]
	v_mul_f64 v[206:207], v[192:193], s[34:35]
	v_fmac_f64_e32 v[236:237], s[22:23], v[188:189]
	v_mul_f64 v[192:193], v[192:193], s[30:31]
	v_fma_f64 v[238:239], s[22:23], v[156:157], v[174:175]
	v_mul_f64 v[154:155], v[154:155], s[20:21]
	v_add_f64 v[150:151], v[150:151], -v[202:203]
	v_add_f64 v[72:73], v[72:73], v[96:97]
	v_mul_f64 v[208:209], v[212:213], s[26:27]
	v_add_f64 v[230:231], v[236:237], v[182:183]
	v_mul_f64 v[212:213], v[212:213], s[40:41]
	v_fma_f64 v[236:237], s[24:25], v[168:169], v[192:193]
	v_add_f64 v[238:239], v[238:239], v[240:241]
	v_mul_f64 v[166:167], v[166:167], s[26:27]
	v_fma_f64 v[242:243], v[140:141], s[16:17], -v[154:155]
	v_fma_f64 v[156:157], v[156:157], s[22:23], -v[174:175]
	v_fmac_f64_e32 v[154:155], s[16:17], v[140:141]
	v_add_f64 v[142:143], v[150:151], v[142:143]
	v_accvgpr_read_b32 v151, a1
	v_add_f64 v[72:73], v[72:73], v[84:85]
	v_mul_f64 v[182:183], v[216:217], s[36:37]
	v_fma_f64 v[234:235], s[18:19], v[180:181], v[212:213]
	v_add_f64 v[236:237], v[236:237], v[238:239]
	v_mul_f64 v[178:179], v[178:179], s[30:31]
	v_fma_f64 v[240:241], v[148:149], s[22:23], -v[166:167]
	v_fma_f64 v[168:169], v[168:169], s[24:25], -v[192:193]
	v_add_f64 v[146:147], v[156:157], v[146:147]
	v_fmac_f64_e32 v[166:167], s[22:23], v[148:149]
	v_add_f64 v[140:141], v[88:89], v[154:155]
	v_accvgpr_read_b32 v150, a0
	v_add_f64 v[72:73], v[72:73], v[76:77]
	v_mul_f64 v[186:187], v[148:149], s[16:17]
	v_fma_f64 v[216:217], s[6:7], v[204:205], v[182:183]
	v_add_f64 v[234:235], v[234:235], v[236:237]
	v_mul_f64 v[200:201], v[200:201], s[40:41]
	v_fma_f64 v[238:239], v[158:159], s[24:25], -v[178:179]
	v_fma_f64 v[180:181], v[180:181], s[18:19], -v[212:213]
	v_add_f64 v[146:147], v[168:169], v[146:147]
	v_fmac_f64_e32 v[178:179], s[24:25], v[158:159]
	v_add_f64 v[140:141], v[166:167], v[140:141]
	v_add_f64 v[138:139], v[150:151], v[138:139]
	;; [unrolled: 1-line block ×4, first 2 shown]
	v_mul_f64 v[190:191], v[158:159], s[18:19]
	v_add_f64 v[216:217], v[216:217], v[234:235]
	v_mul_f64 v[234:235], v[214:215], s[36:37]
	v_fma_f64 v[236:237], v[170:171], s[18:19], -v[200:201]
	v_add_f64 v[242:243], v[88:89], v[242:243]
	v_fma_f64 v[182:183], v[204:205], s[6:7], -v[182:183]
	v_add_f64 v[146:147], v[180:181], v[146:147]
	v_fmac_f64_e32 v[200:201], s[18:19], v[170:171]
	v_add_f64 v[140:141], v[178:179], v[140:141]
	v_add_f64 v[148:149], v[160:161], -v[206:207]
	v_add_f64 v[144:145], v[186:187], v[144:145]
	v_add_f64 v[138:139], v[88:89], v[138:139]
	;; [unrolled: 1-line block ×4, first 2 shown]
	v_mul_f64 v[194:195], v[170:171], s[22:23]
	v_fma_f64 v[214:215], v[188:189], s[6:7], -v[234:235]
	v_add_f64 v[240:241], v[240:241], v[242:243]
	v_add_f64 v[156:157], v[182:183], v[146:147]
	v_fmac_f64_e32 v[234:235], s[6:7], v[188:189]
	v_add_f64 v[140:141], v[200:201], v[140:141]
	v_add_f64 v[146:147], v[172:173], -v[208:209]
	v_add_f64 v[142:143], v[148:149], v[142:143]
	v_add_f64 v[148:149], v[190:191], v[152:153]
	;; [unrolled: 1-line block ×5, first 2 shown]
	v_mul_f64 v[196:197], v[188:189], s[24:25]
	v_add_f64 v[238:239], v[238:239], v[240:241]
	v_add_f64 v[154:155], v[234:235], v[140:141]
	v_add_f64 v[140:141], v[184:185], -v[210:211]
	v_add_f64 v[142:143], v[146:147], v[142:143]
	v_add_f64 v[146:147], v[194:195], v[164:165]
	;; [unrolled: 1-line block ×5, first 2 shown]
	v_mul_lo_u16_e32 v76, 11, v132
	v_add_f64 v[236:237], v[236:237], v[238:239]
	v_add_f64 v[140:141], v[140:141], v[142:143]
	;; [unrolled: 1-line block ×6, first 2 shown]
	v_lshl_add_u32 v76, v76, 4, v218
	v_add_f64 v[214:215], v[214:215], v[236:237]
	v_add_f64 v[138:139], v[142:143], v[138:139]
	ds_write_b128 v76, v[72:75]
	ds_write_b128 v76, v[138:141] offset:16
	ds_write_b128 v76, v[154:157] offset:32
	;; [unrolled: 1-line block ×10, first 2 shown]
.LBB0_17:
	s_or_b64 exec, exec, s[0:1]
	s_waitcnt lgkmcnt(0)
	s_barrier
	ds_read_b128 v[72:75], v219
	ds_read_b128 v[78:81], v219 offset:528
	ds_read_b128 v[82:85], v219 offset:1056
	;; [unrolled: 1-line block ×9, first 2 shown]
	s_waitcnt lgkmcnt(8)
	v_mul_f64 v[76:77], v[18:19], v[80:81]
	v_mul_f64 v[18:19], v[18:19], v[78:79]
	v_fmac_f64_e32 v[76:77], v[16:17], v[78:79]
	v_fma_f64 v[16:17], v[16:17], v[80:81], -v[18:19]
	s_waitcnt lgkmcnt(7)
	v_mul_f64 v[18:19], v[14:15], v[84:85]
	v_mul_f64 v[14:15], v[14:15], v[82:83]
	v_fmac_f64_e32 v[18:19], v[12:13], v[82:83]
	v_fma_f64 v[12:13], v[12:13], v[84:85], -v[14:15]
	;; [unrolled: 5-line block ×8, first 2 shown]
	v_add_f64 v[78:79], v[10:11], v[34:35]
	s_mov_b32 s20, 0x134454ff
	v_fma_f64 v[78:79], -0.5, v[78:79], v[72:73]
	v_add_f64 v[80:81], v[12:13], -v[20:21]
	s_mov_b32 s21, 0xbfee6f0e
	s_mov_b32 s18, 0x4755a5e
	;; [unrolled: 1-line block ×4, first 2 shown]
	v_fma_f64 v[82:83], s[20:21], v[80:81], v[78:79]
	v_add_f64 v[84:85], v[4:5], -v[28:29]
	s_mov_b32 s19, 0xbfe2cf23
	v_add_f64 v[86:87], v[18:19], -v[10:11]
	v_add_f64 v[88:89], v[26:27], -v[34:35]
	s_mov_b32 s16, 0x372fe950
	v_fmac_f64_e32 v[78:79], s[6:7], v[80:81]
	s_mov_b32 s1, 0x3fe2cf23
	s_mov_b32 s0, s18
	v_fmac_f64_e32 v[82:83], s[18:19], v[84:85]
	v_add_f64 v[86:87], v[86:87], v[88:89]
	s_mov_b32 s17, 0x3fd3c6ef
	v_fmac_f64_e32 v[78:79], s[0:1], v[84:85]
	s_waitcnt lgkmcnt(0)
	v_mul_f64 v[22:23], v[46:47], v[118:119]
	v_mul_f64 v[46:47], v[46:47], v[116:117]
	v_fmac_f64_e32 v[82:83], s[16:17], v[86:87]
	v_fmac_f64_e32 v[78:79], s[16:17], v[86:87]
	v_add_f64 v[86:87], v[18:19], v[26:27]
	v_fmac_f64_e32 v[22:23], v[44:45], v[116:117]
	v_fma_f64 v[44:45], v[44:45], v[118:119], -v[46:47]
	v_add_f64 v[46:47], v[72:73], v[18:19]
	v_fmac_f64_e32 v[72:73], -0.5, v[86:87]
	v_add_f64 v[46:47], v[46:47], v[10:11]
	v_fma_f64 v[86:87], s[6:7], v[84:85], v[72:73]
	v_add_f64 v[88:89], v[10:11], -v[18:19]
	v_add_f64 v[90:91], v[34:35], -v[26:27]
	v_fmac_f64_e32 v[72:73], s[20:21], v[84:85]
	v_add_f64 v[84:85], v[4:5], v[28:29]
	v_add_f64 v[46:47], v[46:47], v[34:35]
	v_fmac_f64_e32 v[86:87], s[18:19], v[80:81]
	v_add_f64 v[88:89], v[88:89], v[90:91]
	v_fmac_f64_e32 v[72:73], s[0:1], v[80:81]
	v_fma_f64 v[84:85], -0.5, v[84:85], v[74:75]
	v_add_f64 v[18:19], v[18:19], -v[26:27]
	v_add_f64 v[46:47], v[46:47], v[26:27]
	v_fmac_f64_e32 v[86:87], s[16:17], v[88:89]
	v_fmac_f64_e32 v[72:73], s[16:17], v[88:89]
	v_fma_f64 v[88:89], s[6:7], v[18:19], v[84:85]
	v_add_f64 v[10:11], v[10:11], -v[34:35]
	v_add_f64 v[26:27], v[12:13], -v[4:5]
	v_add_f64 v[34:35], v[20:21], -v[28:29]
	v_fmac_f64_e32 v[84:85], s[20:21], v[18:19]
	v_fmac_f64_e32 v[88:89], s[0:1], v[10:11]
	v_add_f64 v[26:27], v[26:27], v[34:35]
	v_fmac_f64_e32 v[84:85], s[18:19], v[10:11]
	v_fmac_f64_e32 v[88:89], s[16:17], v[26:27]
	;; [unrolled: 1-line block ×3, first 2 shown]
	v_add_f64 v[26:27], v[12:13], v[20:21]
	v_add_f64 v[80:81], v[74:75], v[12:13]
	v_fmac_f64_e32 v[74:75], -0.5, v[26:27]
	v_add_f64 v[80:81], v[80:81], v[4:5]
	v_fma_f64 v[34:35], s[20:21], v[10:11], v[74:75]
	v_fmac_f64_e32 v[74:75], s[6:7], v[10:11]
	v_add_f64 v[10:11], v[6:7], v[30:31]
	v_add_f64 v[80:81], v[80:81], v[28:29]
	v_add_f64 v[4:5], v[4:5], -v[12:13]
	v_add_f64 v[12:13], v[28:29], -v[20:21]
	v_fma_f64 v[28:29], -0.5, v[10:11], v[76:77]
	v_add_f64 v[10:11], v[8:9], -v[44:45]
	v_add_f64 v[80:81], v[80:81], v[20:21]
	v_fmac_f64_e32 v[34:35], s[0:1], v[18:19]
	v_add_f64 v[4:5], v[4:5], v[12:13]
	v_fmac_f64_e32 v[74:75], s[18:19], v[18:19]
	v_fma_f64 v[20:21], s[20:21], v[10:11], v[28:29]
	v_add_f64 v[12:13], v[32:33], -v[24:25]
	v_add_f64 v[18:19], v[14:15], -v[6:7]
	;; [unrolled: 1-line block ×3, first 2 shown]
	v_fmac_f64_e32 v[28:29], s[6:7], v[10:11]
	v_fmac_f64_e32 v[20:21], s[18:19], v[12:13]
	v_add_f64 v[18:19], v[18:19], v[26:27]
	v_fmac_f64_e32 v[28:29], s[0:1], v[12:13]
	v_fmac_f64_e32 v[20:21], s[16:17], v[18:19]
	;; [unrolled: 1-line block ×3, first 2 shown]
	v_add_f64 v[18:19], v[14:15], v[22:23]
	v_fmac_f64_e32 v[34:35], s[16:17], v[4:5]
	v_fmac_f64_e32 v[74:75], s[16:17], v[4:5]
	v_add_f64 v[4:5], v[76:77], v[14:15]
	v_fmac_f64_e32 v[76:77], -0.5, v[18:19]
	v_fma_f64 v[90:91], s[6:7], v[12:13], v[76:77]
	v_fmac_f64_e32 v[76:77], s[20:21], v[12:13]
	v_fmac_f64_e32 v[90:91], s[18:19], v[10:11]
	;; [unrolled: 1-line block ×3, first 2 shown]
	v_add_f64 v[10:11], v[16:17], v[8:9]
	v_add_f64 v[10:11], v[10:11], v[32:33]
	;; [unrolled: 1-line block ×3, first 2 shown]
	v_add_f64 v[18:19], v[6:7], -v[14:15]
	v_add_f64 v[26:27], v[30:31], -v[22:23]
	v_add_f64 v[92:93], v[10:11], v[44:45]
	v_add_f64 v[10:11], v[32:33], v[24:25]
	v_add_f64 v[18:19], v[18:19], v[26:27]
	v_fma_f64 v[94:95], -0.5, v[10:11], v[16:17]
	v_add_f64 v[10:11], v[14:15], -v[22:23]
	v_add_f64 v[4:5], v[4:5], v[6:7]
	v_fmac_f64_e32 v[90:91], s[16:17], v[18:19]
	v_fmac_f64_e32 v[76:77], s[16:17], v[18:19]
	v_fma_f64 v[14:15], s[6:7], v[10:11], v[94:95]
	v_add_f64 v[6:7], v[6:7], -v[30:31]
	v_add_f64 v[12:13], v[8:9], -v[32:33]
	;; [unrolled: 1-line block ×3, first 2 shown]
	v_fmac_f64_e32 v[94:95], s[20:21], v[10:11]
	v_fmac_f64_e32 v[14:15], s[0:1], v[6:7]
	v_add_f64 v[12:13], v[12:13], v[18:19]
	v_fmac_f64_e32 v[94:95], s[18:19], v[6:7]
	v_fmac_f64_e32 v[14:15], s[16:17], v[12:13]
	;; [unrolled: 1-line block ×3, first 2 shown]
	v_add_f64 v[12:13], v[8:9], v[44:45]
	v_fmac_f64_e32 v[16:17], -0.5, v[12:13]
	v_add_f64 v[4:5], v[4:5], v[30:31]
	v_fma_f64 v[30:31], s[20:21], v[6:7], v[16:17]
	v_add_f64 v[8:9], v[32:33], -v[8:9]
	v_add_f64 v[12:13], v[24:25], -v[44:45]
	v_fmac_f64_e32 v[16:17], s[6:7], v[6:7]
	v_fmac_f64_e32 v[30:31], s[0:1], v[10:11]
	v_add_f64 v[8:9], v[8:9], v[12:13]
	v_fmac_f64_e32 v[16:17], s[18:19], v[10:11]
	v_fmac_f64_e32 v[30:31], s[16:17], v[8:9]
	;; [unrolled: 1-line block ×3, first 2 shown]
	s_mov_b32 s22, 0x9b97f4a8
	v_mul_f64 v[6:7], v[14:15], s[18:19]
	s_mov_b32 s23, 0x3fe9e377
	v_mul_f64 v[32:33], v[30:31], s[20:21]
	v_mul_f64 v[96:97], v[16:17], s[20:21]
	s_mov_b32 s21, 0xbfd3c6ef
	s_mov_b32 s20, s16
	v_mul_f64 v[98:99], v[94:95], s[18:19]
	s_mov_b32 s19, 0xbfe9e377
	s_mov_b32 s18, s22
	v_mul_f64 v[102:103], v[30:31], s[16:17]
	v_fmac_f64_e32 v[32:33], s[16:17], v[90:91]
	v_mul_f64 v[100:101], v[14:15], s[22:23]
	v_fmac_f64_e32 v[102:103], s[6:7], v[90:91]
	v_mul_f64 v[16:17], v[16:17], s[20:21]
	v_mul_f64 v[90:91], v[94:95], s[18:19]
	v_add_f64 v[4:5], v[4:5], v[22:23]
	v_fmac_f64_e32 v[6:7], s[22:23], v[20:21]
	v_fmac_f64_e32 v[96:97], s[20:21], v[76:77]
	;; [unrolled: 1-line block ×6, first 2 shown]
	v_add_f64 v[8:9], v[46:47], v[4:5]
	v_add_f64 v[12:13], v[82:83], v[6:7]
	v_add_f64 v[18:19], v[86:87], v[32:33]
	v_add_f64 v[22:23], v[72:73], v[96:97]
	v_add_f64 v[26:27], v[78:79], v[98:99]
	v_add_f64 v[10:11], v[80:81], v[92:93]
	v_add_f64 v[14:15], v[88:89], v[100:101]
	v_add_f64 v[20:21], v[34:35], v[102:103]
	v_add_f64 v[24:25], v[74:75], v[16:17]
	v_add_f64 v[28:29], v[84:85], v[90:91]
	v_add_f64 v[30:31], v[46:47], -v[4:5]
	v_add_f64 v[44:45], v[82:83], -v[6:7]
	;; [unrolled: 1-line block ×10, first 2 shown]
	s_barrier
	ds_write_b128 v220, v[8:11]
	ds_write_b128 v220, v[12:15] offset:176
	ds_write_b128 v220, v[18:21] offset:352
	ds_write_b128 v220, v[22:25] offset:528
	ds_write_b128 v220, v[26:29] offset:704
	ds_write_b128 v220, v[30:33] offset:880
	ds_write_b128 v220, v[44:47] offset:1056
	ds_write_b128 v220, v[76:79] offset:1232
	ds_write_b128 v220, v[72:75] offset:1408
	ds_write_b128 v220, v[4:7] offset:1584
	s_waitcnt lgkmcnt(0)
	s_barrier
	ds_read_b128 v[16:19], v219
	ds_read_b128 v[12:15], v219 offset:528
	ds_read_b128 v[32:35], v219 offset:3520
	;; [unrolled: 1-line block ×8, first 2 shown]
	v_add_u32_e32 v77, 0x210, v221
	v_add_u32_e32 v76, 0x420, v221
	s_and_saveexec_b64 s[0:1], s[2:3]
	s_cbranch_execz .LBB0_19
; %bb.18:
	ds_read_b128 v[4:7], v219 offset:1584
	ds_read_b128 v[104:107], v219 offset:3344
	;; [unrolled: 1-line block ×3, first 2 shown]
.LBB0_19:
	s_or_b64 exec, exec, s[0:1]
	s_waitcnt lgkmcnt(4)
	v_mul_f64 v[78:79], v[54:55], v[74:75]
	v_mul_f64 v[54:55], v[54:55], v[72:73]
	v_fmac_f64_e32 v[78:79], v[52:53], v[72:73]
	v_fma_f64 v[52:53], v[52:53], v[74:75], -v[54:55]
	v_mul_f64 v[54:55], v[50:51], v[34:35]
	v_fmac_f64_e32 v[54:55], v[48:49], v[32:33]
	v_mul_f64 v[32:33], v[50:51], v[32:33]
	v_fma_f64 v[32:33], v[48:49], v[34:35], -v[32:33]
	s_waitcnt lgkmcnt(2)
	v_mul_f64 v[34:35], v[62:63], v[46:47]
	v_fmac_f64_e32 v[34:35], v[60:61], v[44:45]
	v_mul_f64 v[44:45], v[62:63], v[44:45]
	v_fma_f64 v[44:45], v[60:61], v[46:47], -v[44:45]
	v_mul_f64 v[46:47], v[58:59], v[30:31]
	v_fmac_f64_e32 v[46:47], v[56:57], v[28:29]
	v_mul_f64 v[28:29], v[58:59], v[28:29]
	s_waitcnt lgkmcnt(0)
	v_mul_f64 v[58:59], v[66:67], v[22:23]
	v_mul_f64 v[50:51], v[70:71], v[26:27]
	v_fmac_f64_e32 v[58:59], v[64:65], v[20:21]
	v_mul_f64 v[20:21], v[66:67], v[20:21]
	v_fmac_f64_e32 v[50:51], v[68:69], v[24:25]
	v_mul_f64 v[24:25], v[70:71], v[24:25]
	v_fma_f64 v[60:61], v[64:65], v[22:23], -v[20:21]
	v_add_f64 v[22:23], v[78:79], v[54:55]
	s_mov_b32 s0, 0xe8584caa
	v_fma_f64 v[48:49], v[56:57], v[30:31], -v[28:29]
	v_fma_f64 v[56:57], v[68:69], v[26:27], -v[24:25]
	v_add_f64 v[20:21], v[16:17], v[78:79]
	v_fmac_f64_e32 v[16:17], -0.5, v[22:23]
	v_add_f64 v[22:23], v[52:53], -v[32:33]
	s_mov_b32 s1, 0xbfebb67a
	s_mov_b32 s7, 0x3febb67a
	;; [unrolled: 1-line block ×3, first 2 shown]
	v_add_f64 v[26:27], v[52:53], v[32:33]
	v_fma_f64 v[24:25], s[0:1], v[22:23], v[16:17]
	v_fmac_f64_e32 v[16:17], s[6:7], v[22:23]
	v_add_f64 v[22:23], v[18:19], v[52:53]
	v_fmac_f64_e32 v[18:19], -0.5, v[26:27]
	v_add_f64 v[28:29], v[78:79], -v[54:55]
	v_add_f64 v[30:31], v[34:35], v[46:47]
	v_fma_f64 v[26:27], s[6:7], v[28:29], v[18:19]
	v_fmac_f64_e32 v[18:19], s[0:1], v[28:29]
	v_add_f64 v[28:29], v[12:13], v[34:35]
	v_fmac_f64_e32 v[12:13], -0.5, v[30:31]
	v_add_f64 v[30:31], v[44:45], -v[48:49]
	v_add_f64 v[22:23], v[22:23], v[32:33]
	v_fma_f64 v[32:33], s[0:1], v[30:31], v[12:13]
	v_fmac_f64_e32 v[12:13], s[6:7], v[30:31]
	v_add_f64 v[30:31], v[14:15], v[44:45]
	v_add_f64 v[44:45], v[44:45], v[48:49]
	;; [unrolled: 1-line block ×3, first 2 shown]
	v_fmac_f64_e32 v[14:15], -0.5, v[44:45]
	v_add_f64 v[44:45], v[34:35], -v[46:47]
	v_add_f64 v[46:47], v[50:51], v[58:59]
	v_fma_f64 v[34:35], s[6:7], v[44:45], v[14:15]
	v_fmac_f64_e32 v[14:15], s[0:1], v[44:45]
	v_add_f64 v[44:45], v[8:9], v[50:51]
	v_fmac_f64_e32 v[8:9], -0.5, v[46:47]
	v_add_f64 v[46:47], v[56:57], -v[60:61]
	v_add_f64 v[52:53], v[56:57], v[60:61]
	v_add_f64 v[20:21], v[20:21], v[54:55]
	;; [unrolled: 1-line block ×3, first 2 shown]
	v_fma_f64 v[48:49], s[0:1], v[46:47], v[8:9]
	v_fmac_f64_e32 v[8:9], s[6:7], v[46:47]
	v_add_f64 v[46:47], v[10:11], v[56:57]
	v_fmac_f64_e32 v[10:11], -0.5, v[52:53]
	v_add_f64 v[52:53], v[50:51], -v[58:59]
	v_add_f64 v[44:45], v[44:45], v[58:59]
	v_add_f64 v[46:47], v[46:47], v[60:61]
	v_fma_f64 v[50:51], s[6:7], v[52:53], v[10:11]
	v_fmac_f64_e32 v[10:11], s[0:1], v[52:53]
	ds_write_b128 v133, v[20:23]
	ds_write_b128 v133, v[24:27] offset:1760
	ds_write_b128 v133, v[16:19] offset:3520
	;; [unrolled: 1-line block ×8, first 2 shown]
	v_lshl_add_u32 v20, v135, 4, v136
	s_and_saveexec_b64 s[16:17], s[2:3]
	s_cbranch_execz .LBB0_21
; %bb.20:
	v_mul_f64 v[8:9], v[42:43], v[104:105]
	v_fma_f64 v[10:11], v[40:41], v[106:107], -v[8:9]
	v_mul_f64 v[8:9], v[38:39], v[0:1]
	v_fma_f64 v[14:15], v[36:37], v[2:3], -v[8:9]
	v_mul_f64 v[16:17], v[42:43], v[106:107]
	v_mul_f64 v[18:19], v[38:39], v[2:3]
	v_add_f64 v[8:9], v[10:11], v[14:15]
	v_fmac_f64_e32 v[16:17], v[40:41], v[104:105]
	v_fmac_f64_e32 v[18:19], v[36:37], v[0:1]
	v_fma_f64 v[8:9], -0.5, v[8:9], v[6:7]
	v_add_f64 v[0:1], v[16:17], -v[18:19]
	v_fma_f64 v[2:3], s[0:1], v[0:1], v[8:9]
	v_fmac_f64_e32 v[8:9], s[6:7], v[0:1]
	v_add_f64 v[0:1], v[6:7], v[10:11]
	v_add_f64 v[12:13], v[0:1], v[14:15]
	;; [unrolled: 1-line block ×3, first 2 shown]
	v_fma_f64 v[6:7], -0.5, v[0:1], v[4:5]
	v_add_f64 v[10:11], v[10:11], -v[14:15]
	v_add_f64 v[4:5], v[4:5], v[16:17]
	v_fma_f64 v[0:1], s[6:7], v[10:11], v[6:7]
	v_fmac_f64_e32 v[6:7], s[0:1], v[10:11]
	v_add_f64 v[10:11], v[4:5], v[18:19]
	ds_write_b128 v20, v[10:13] offset:1584
	ds_write_b128 v20, v[6:9] offset:3344
	;; [unrolled: 1-line block ×3, first 2 shown]
.LBB0_21:
	s_or_b64 exec, exec, s[16:17]
	s_waitcnt lgkmcnt(0)
	s_barrier
	s_and_b64 exec, exec, s[4:5]
	s_cbranch_execz .LBB0_23
; %bb.22:
	global_load_dwordx4 v[0:3], v136, s[12:13]
	global_load_dwordx4 v[4:7], v136, s[12:13] offset:480
	global_load_dwordx4 v[8:11], v136, s[12:13] offset:960
	;; [unrolled: 1-line block ×5, first 2 shown]
	ds_read_b128 v[22:25], v133
	ds_read_b128 v[30:33], v20 offset:480
	ds_read_b128 v[34:37], v20 offset:960
	;; [unrolled: 1-line block ×4, first 2 shown]
	global_load_dwordx4 v[46:49], v136, s[12:13] offset:2880
	global_load_dwordx4 v[50:53], v136, s[12:13] offset:3360
	;; [unrolled: 1-line block ×3, first 2 shown]
	v_mov_b32_e32 v137, 0
	v_mad_u64_u32 v[70:71], s[2:3], s8, v132, 0
	v_mad_u64_u32 v[68:69], s[0:1], s10, v134, 0
	s_movk_i32 s3, 0x1000
	v_lshl_add_u64 v[60:61], s[12:13], 0, v[136:137]
	v_mov_b32_e32 v58, v69
	v_mov_b32_e32 v62, v71
	v_add_co_u32_e32 v72, vcc, s3, v60
	v_mad_u64_u32 v[58:59], s[4:5], s11, v134, v[58:59]
	v_mad_u64_u32 v[62:63], s[4:5], s9, v132, v[62:63]
	v_addc_co_u32_e32 v73, vcc, 0, v61, vcc
	v_mov_b32_e32 v69, v58
	v_mov_b32_e32 v71, v62
	global_load_dwordx4 v[58:61], v[72:73], off offset:224
	global_load_dwordx4 v[62:65], v[72:73], off offset:704
	v_mov_b32_e32 v66, s14
	v_mov_b32_e32 v67, s15
	v_lshl_add_u64 v[66:67], v[68:69], 4, v[66:67]
	v_mov_b32_e32 v21, 0x1e0
	v_lshl_add_u64 v[66:67], v[70:71], 4, v[66:67]
	s_mul_i32 s2, s9, 0x1e0
	v_mad_u64_u32 v[68:69], s[4:5], s8, v21, v[66:67]
	v_add_u32_e32 v69, s2, v69
	s_mov_b32 s0, 0x8d3018d3
	v_mad_u64_u32 v[70:71], s[4:5], s8, v21, v[68:69]
	s_mov_b32 s1, 0x3f68d301
	v_add_u32_e32 v71, s2, v71
	v_mad_u64_u32 v[72:73], s[4:5], s8, v21, v[70:71]
	v_add_u32_e32 v73, s2, v73
	s_waitcnt vmcnt(10) lgkmcnt(4)
	v_mul_f64 v[74:75], v[24:25], v[2:3]
	v_mul_f64 v[2:3], v[22:23], v[2:3]
	s_waitcnt vmcnt(9) lgkmcnt(3)
	v_mul_f64 v[76:77], v[32:33], v[6:7]
	v_mul_f64 v[6:7], v[30:31], v[6:7]
	;; [unrolled: 3-line block ×4, first 2 shown]
	v_fmac_f64_e32 v[74:75], v[22:23], v[0:1]
	v_fma_f64 v[2:3], v[0:1], v[24:25], -v[2:3]
	s_waitcnt vmcnt(6) lgkmcnt(0)
	v_mul_f64 v[82:83], v[44:45], v[18:19]
	v_mul_f64 v[18:19], v[42:43], v[18:19]
	v_fmac_f64_e32 v[76:77], v[30:31], v[4:5]
	v_fma_f64 v[6:7], v[4:5], v[32:33], -v[6:7]
	v_fmac_f64_e32 v[78:79], v[34:35], v[8:9]
	v_fma_f64 v[10:11], v[8:9], v[36:37], -v[10:11]
	;; [unrolled: 2-line block ×3, first 2 shown]
	v_mul_f64 v[0:1], v[74:75], s[0:1]
	v_mul_f64 v[2:3], v[2:3], s[0:1]
	;; [unrolled: 1-line block ×8, first 2 shown]
	global_store_dwordx4 v[66:67], v[0:3], off
	global_store_dwordx4 v[68:69], v[4:7], off
	;; [unrolled: 1-line block ×4, first 2 shown]
	v_fma_f64 v[0:1], v[16:17], v[44:45], -v[18:19]
	v_mul_f64 v[24:25], v[0:1], s[0:1]
	ds_read_b128 v[0:3], v20 offset:2400
	ds_read_b128 v[4:7], v20 offset:2880
	v_fmac_f64_e32 v[82:83], v[42:43], v[16:17]
	v_mad_u64_u32 v[12:13], s[4:5], s8, v21, v[72:73]
	s_waitcnt vmcnt(9) lgkmcnt(1)
	v_mul_f64 v[8:9], v[2:3], v[28:29]
	v_fmac_f64_e32 v[8:9], v[0:1], v[26:27]
	v_mul_f64 v[0:1], v[0:1], v[28:29]
	v_mul_f64 v[22:23], v[82:83], s[0:1]
	v_add_u32_e32 v13, s2, v13
	v_fma_f64 v[0:1], v[26:27], v[2:3], -v[0:1]
	global_store_dwordx4 v[12:13], v[22:25], off
	v_mul_f64 v[10:11], v[0:1], s[0:1]
	v_mad_u64_u32 v[12:13], s[4:5], s8, v21, v[12:13]
	s_waitcnt vmcnt(9) lgkmcnt(0)
	v_mul_f64 v[0:1], v[6:7], v[48:49]
	v_mul_f64 v[2:3], v[4:5], v[48:49]
	;; [unrolled: 1-line block ×3, first 2 shown]
	v_add_u32_e32 v13, s2, v13
	v_fmac_f64_e32 v[0:1], v[4:5], v[46:47]
	v_fma_f64 v[2:3], v[46:47], v[6:7], -v[2:3]
	ds_read_b128 v[4:7], v20 offset:3360
	global_store_dwordx4 v[12:13], v[8:11], off
	v_mad_u64_u32 v[12:13], s[4:5], s8, v21, v[12:13]
	v_mul_f64 v[0:1], v[0:1], s[0:1]
	v_mul_f64 v[2:3], v[2:3], s[0:1]
	v_add_u32_e32 v13, s2, v13
	global_store_dwordx4 v[12:13], v[0:3], off
	ds_read_b128 v[0:3], v20 offset:3840
	s_waitcnt vmcnt(10) lgkmcnt(1)
	v_mul_f64 v[8:9], v[6:7], v[52:53]
	v_fmac_f64_e32 v[8:9], v[4:5], v[50:51]
	v_mul_f64 v[4:5], v[4:5], v[52:53]
	v_fma_f64 v[4:5], v[50:51], v[6:7], -v[4:5]
	v_mul_f64 v[10:11], v[4:5], s[0:1]
	s_waitcnt vmcnt(9) lgkmcnt(0)
	v_mul_f64 v[4:5], v[2:3], v[56:57]
	v_fmac_f64_e32 v[4:5], v[0:1], v[54:55]
	v_mul_f64 v[0:1], v[0:1], v[56:57]
	v_mad_u64_u32 v[12:13], s[4:5], s8, v21, v[12:13]
	v_fma_f64 v[0:1], v[54:55], v[2:3], -v[0:1]
	v_mul_f64 v[8:9], v[8:9], s[0:1]
	v_add_u32_e32 v13, s2, v13
	v_mul_f64 v[6:7], v[0:1], s[0:1]
	ds_read_b128 v[0:3], v20 offset:4320
	global_store_dwordx4 v[12:13], v[8:11], off
	v_mad_u64_u32 v[12:13], s[4:5], s8, v21, v[12:13]
	v_mul_f64 v[4:5], v[4:5], s[0:1]
	v_add_u32_e32 v13, s2, v13
	global_store_dwordx4 v[12:13], v[4:7], off
	ds_read_b128 v[4:7], v20 offset:4800
	s_waitcnt vmcnt(10) lgkmcnt(1)
	v_mul_f64 v[8:9], v[2:3], v[60:61]
	v_fmac_f64_e32 v[8:9], v[0:1], v[58:59]
	v_mul_f64 v[0:1], v[0:1], v[60:61]
	v_fma_f64 v[0:1], v[58:59], v[2:3], -v[0:1]
	v_mul_f64 v[10:11], v[0:1], s[0:1]
	v_mad_u64_u32 v[12:13], s[4:5], s8, v21, v[12:13]
	s_waitcnt vmcnt(9) lgkmcnt(0)
	v_mul_f64 v[0:1], v[6:7], v[64:65]
	v_mul_f64 v[2:3], v[4:5], v[64:65]
	v_add_u32_e32 v13, s2, v13
	v_fmac_f64_e32 v[0:1], v[4:5], v[62:63]
	v_fma_f64 v[2:3], v[62:63], v[6:7], -v[2:3]
	v_mul_f64 v[8:9], v[8:9], s[0:1]
	v_mul_f64 v[0:1], v[0:1], s[0:1]
	;; [unrolled: 1-line block ×3, first 2 shown]
	v_mad_u64_u32 v[4:5], s[0:1], s8, v21, v[12:13]
	v_add_u32_e32 v5, s2, v5
	global_store_dwordx4 v[12:13], v[8:11], off
	global_store_dwordx4 v[4:5], v[0:3], off
.LBB0_23:
	s_endpgm
	.section	.rodata,"a",@progbits
	.p2align	6, 0x0
	.amdhsa_kernel bluestein_single_back_len330_dim1_dp_op_CI_CI
		.amdhsa_group_segment_fixed_size 15840
		.amdhsa_private_segment_fixed_size 0
		.amdhsa_kernarg_size 104
		.amdhsa_user_sgpr_count 2
		.amdhsa_user_sgpr_dispatch_ptr 0
		.amdhsa_user_sgpr_queue_ptr 0
		.amdhsa_user_sgpr_kernarg_segment_ptr 1
		.amdhsa_user_sgpr_dispatch_id 0
		.amdhsa_user_sgpr_kernarg_preload_length 0
		.amdhsa_user_sgpr_kernarg_preload_offset 0
		.amdhsa_user_sgpr_private_segment_size 0
		.amdhsa_uses_dynamic_stack 0
		.amdhsa_enable_private_segment 0
		.amdhsa_system_sgpr_workgroup_id_x 1
		.amdhsa_system_sgpr_workgroup_id_y 0
		.amdhsa_system_sgpr_workgroup_id_z 0
		.amdhsa_system_sgpr_workgroup_info 0
		.amdhsa_system_vgpr_workitem_id 0
		.amdhsa_next_free_vgpr 258
		.amdhsa_next_free_sgpr 44
		.amdhsa_accum_offset 256
		.amdhsa_reserve_vcc 1
		.amdhsa_float_round_mode_32 0
		.amdhsa_float_round_mode_16_64 0
		.amdhsa_float_denorm_mode_32 3
		.amdhsa_float_denorm_mode_16_64 3
		.amdhsa_dx10_clamp 1
		.amdhsa_ieee_mode 1
		.amdhsa_fp16_overflow 0
		.amdhsa_tg_split 0
		.amdhsa_exception_fp_ieee_invalid_op 0
		.amdhsa_exception_fp_denorm_src 0
		.amdhsa_exception_fp_ieee_div_zero 0
		.amdhsa_exception_fp_ieee_overflow 0
		.amdhsa_exception_fp_ieee_underflow 0
		.amdhsa_exception_fp_ieee_inexact 0
		.amdhsa_exception_int_div_zero 0
	.end_amdhsa_kernel
	.text
.Lfunc_end0:
	.size	bluestein_single_back_len330_dim1_dp_op_CI_CI, .Lfunc_end0-bluestein_single_back_len330_dim1_dp_op_CI_CI
                                        ; -- End function
	.section	.AMDGPU.csdata,"",@progbits
; Kernel info:
; codeLenInByte = 13560
; NumSgprs: 50
; NumVgprs: 256
; NumAgprs: 2
; TotalNumVgprs: 258
; ScratchSize: 0
; MemoryBound: 0
; FloatMode: 240
; IeeeMode: 1
; LDSByteSize: 15840 bytes/workgroup (compile time only)
; SGPRBlocks: 6
; VGPRBlocks: 32
; NumSGPRsForWavesPerEU: 50
; NumVGPRsForWavesPerEU: 258
; AccumOffset: 256
; Occupancy: 1
; WaveLimiterHint : 1
; COMPUTE_PGM_RSRC2:SCRATCH_EN: 0
; COMPUTE_PGM_RSRC2:USER_SGPR: 2
; COMPUTE_PGM_RSRC2:TRAP_HANDLER: 0
; COMPUTE_PGM_RSRC2:TGID_X_EN: 1
; COMPUTE_PGM_RSRC2:TGID_Y_EN: 0
; COMPUTE_PGM_RSRC2:TGID_Z_EN: 0
; COMPUTE_PGM_RSRC2:TIDIG_COMP_CNT: 0
; COMPUTE_PGM_RSRC3_GFX90A:ACCUM_OFFSET: 63
; COMPUTE_PGM_RSRC3_GFX90A:TG_SPLIT: 0
	.text
	.p2alignl 6, 3212836864
	.fill 256, 4, 3212836864
	.type	__hip_cuid_e2a0b3a99fa8ab,@object ; @__hip_cuid_e2a0b3a99fa8ab
	.section	.bss,"aw",@nobits
	.globl	__hip_cuid_e2a0b3a99fa8ab
__hip_cuid_e2a0b3a99fa8ab:
	.byte	0                               ; 0x0
	.size	__hip_cuid_e2a0b3a99fa8ab, 1

	.ident	"AMD clang version 19.0.0git (https://github.com/RadeonOpenCompute/llvm-project roc-6.4.0 25133 c7fe45cf4b819c5991fe208aaa96edf142730f1d)"
	.section	".note.GNU-stack","",@progbits
	.addrsig
	.addrsig_sym __hip_cuid_e2a0b3a99fa8ab
	.amdgpu_metadata
---
amdhsa.kernels:
  - .agpr_count:     2
    .args:
      - .actual_access:  read_only
        .address_space:  global
        .offset:         0
        .size:           8
        .value_kind:     global_buffer
      - .actual_access:  read_only
        .address_space:  global
        .offset:         8
        .size:           8
        .value_kind:     global_buffer
      - .actual_access:  read_only
        .address_space:  global
        .offset:         16
        .size:           8
        .value_kind:     global_buffer
      - .actual_access:  read_only
        .address_space:  global
        .offset:         24
        .size:           8
        .value_kind:     global_buffer
      - .actual_access:  read_only
        .address_space:  global
        .offset:         32
        .size:           8
        .value_kind:     global_buffer
      - .offset:         40
        .size:           8
        .value_kind:     by_value
      - .address_space:  global
        .offset:         48
        .size:           8
        .value_kind:     global_buffer
      - .address_space:  global
        .offset:         56
        .size:           8
        .value_kind:     global_buffer
      - .address_space:  global
        .offset:         64
        .size:           8
        .value_kind:     global_buffer
      - .address_space:  global
        .offset:         72
        .size:           8
        .value_kind:     global_buffer
      - .offset:         80
        .size:           4
        .value_kind:     by_value
      - .address_space:  global
        .offset:         88
        .size:           8
        .value_kind:     global_buffer
      - .address_space:  global
        .offset:         96
        .size:           8
        .value_kind:     global_buffer
    .group_segment_fixed_size: 15840
    .kernarg_segment_align: 8
    .kernarg_segment_size: 104
    .language:       OpenCL C
    .language_version:
      - 2
      - 0
    .max_flat_workgroup_size: 99
    .name:           bluestein_single_back_len330_dim1_dp_op_CI_CI
    .private_segment_fixed_size: 0
    .sgpr_count:     50
    .sgpr_spill_count: 0
    .symbol:         bluestein_single_back_len330_dim1_dp_op_CI_CI.kd
    .uniform_work_group_size: 1
    .uses_dynamic_stack: false
    .vgpr_count:     258
    .vgpr_spill_count: 0
    .wavefront_size: 64
amdhsa.target:   amdgcn-amd-amdhsa--gfx950
amdhsa.version:
  - 1
  - 2
...

	.end_amdgpu_metadata
